;; amdgpu-corpus repo=ROCm/aiter kind=harvested arch=n/a opt=n/a

/root/src/amdgpu-assembly/repos/ROCm__aiter/hsa/gfx942/fmoe_2stages/fmoe_stage1_bf16_pertokenFp8_doweight_g1u1_112x128_pf3.co:	file format elf64-amdgpu

Disassembly of section .text:

0000000000002a00 <_ZN5aiter54fmoe_stage1_bf16_pertokenFp8_doweight_g1u1_112x128_pf3E>:
	s_and_b32 s1, s1, 0xffff                                   // 000000002A00: 8601FF01 0000FFFF
	s_load_dwordx2 s[8:9], s[0:1], 0x0                         // 000000002A08: C0060200 00000000
	s_load_dwordx2 s[20:21], s[0:1], 0x10                      // 000000002A10: C0060500 00000010
	s_load_dwordx2 s[24:25], s[0:1], 0x20                      // 000000002A18: C0060600 00000020
	s_load_dwordx2 s[48:49], s[0:1], 0x30                      // 000000002A20: C0060C00 00000030
	s_load_dwordx2 s[28:29], s[0:1], 0x40                      // 000000002A28: C0060700 00000040
	s_load_dwordx2 s[32:33], s[0:1], 0x50                      // 000000002A30: C0060800 00000050
	s_load_dwordx2 s[36:37], s[0:1], 0x60                      // 000000002A38: C0060900 00000060
	s_load_dwordx2 s[12:13], s[0:1], 0x70                      // 000000002A40: C0060300 00000070
	s_load_dwordx2 s[44:45], s[0:1], 0x80                      // 000000002A48: C0060B00 00000080
	s_mov_b32 s89, 0                                           // 000000002A50: BED90080
	s_load_dword s64, s[0:1], 0x90                             // 000000002A54: C0021000 00000090
	s_load_dword s65, s[0:1], 0xa0                             // 000000002A5C: C0021040 000000A0
	s_load_dword s66, s[0:1], 0xb0                             // 000000002A64: C0021080 000000B0
	s_load_dword s67, s[0:1], 0xc0                             // 000000002A6C: C00210C0 000000C0
	s_load_dword s68, s[0:1], 0xd0                             // 000000002A74: C0021100 000000D0
	s_load_dword s69, s[0:1], 0xe0                             // 000000002A7C: C0021140 000000E0
	s_load_dword s71, s[0:1], 0xf0                             // 000000002A84: C00211C0 000000F0
	s_load_dword s72, s[0:1], 0x100                            // 000000002A8C: C0021200 00000100
	s_load_dword s74, s[0:1], 0x110                            // 000000002A94: C0021280 00000110
	s_load_dword s76, s[0:1], 0x120                            // 000000002A9C: C0021300 00000120
	s_load_dword s56, s[0:1], 0x130                            // 000000002AA4: C0020E00 00000130
	s_load_dword s88, s[0:1], 0x140                            // 000000002AAC: C0021600 00000140
	s_load_dword s89, s[0:1], 0x150                            // 000000002AB4: C0021640 00000150
	s_load_dwordx2 s[40:41], s[0:1], 0x160                     // 000000002ABC: C0060A00 00000160
	v_lshrrev_b32_e32 v1, 10, v0                               // 000000002AC4: 2002008A
	v_lshrrev_b32_e32 v2, 10, v1                               // 000000002AC8: 2004028A
	v_and_b32_e32 v2, 0x3ff, v2                                // 000000002ACC: 260404FF 000003FF
	v_and_b32_e32 v1, 0x3ff, v1                                // 000000002AD4: 260202FF 000003FF
	v_and_b32_e32 v0, 0x3ff, v0                                // 000000002ADC: 260000FF 000003FF
	v_lshrrev_b32_e32 v3, 6, v0                                // 000000002AE4: 20060086
	v_and_b32_e32 v0, 63, v0                                   // 000000002AE8: 260000BF
	s_mov_b32 s2, s2                                           // 000000002AEC: BE820002
	s_mov_b32 s3, s3                                           // 000000002AF0: BE830003
	s_mov_b32 s4, s4                                           // 000000002AF4: BE840004
	v_readfirstlane_b32 s7, v3                                 // 000000002AF8: 7E0E0503
	s_waitcnt lgkmcnt(0)                                       // 000000002AFC: BF8CC07F
	s_and_b32 s49, s49, 0xffff                                 // 000000002B00: 8631FF31 0000FFFF
	s_load_dword s48, s[48:49], 0x0                            // 000000002B08: C0020C18 00000000
	s_and_b32 s45, s45, 0xffff                                 // 000000002B10: 862DFF2D 0000FFFF
	s_and_b32 s9, s9, 0xffff                                   // 000000002B18: 8609FF09 0000FFFF
	s_mul_i32 s60, s66, s68                                    // 000000002B20: 923C4442
	s_mul_i32 s61, s66, 4                                      // 000000002B24: 923D8442
	s_mov_b32 s22, s60                                         // 000000002B28: BE96003C
	s_mov_b32 s26, -16                                         // 000000002B2C: BE9A00D0
	s_mov_b32 s30, s61                                         // 000000002B30: BE9E003D
	s_mov_b32 s14, 0x1c0                                       // 000000002B34: BE8E00FF 000001C0
	s_mov_b32 s38, -16                                         // 000000002B3C: BEA600D0
	s_mov_b32 s10, -16                                         // 000000002B40: BE8A00D0
	s_mov_b32 s34, 0x200                                       // 000000002B44: BEA200FF 00000200
	s_mov_b32 s23, 0x20000                                     // 000000002B4C: BE9700FF 00020000
	s_mov_b32 s27, 0x20000                                     // 000000002B54: BE9B00FF 00020000
	s_mov_b32 s31, 0x20000                                     // 000000002B5C: BE9F00FF 00020000
	s_mov_b32 s35, 0x20000                                     // 000000002B64: BEA300FF 00020000
	s_mov_b32 s15, 0x20000                                     // 000000002B6C: BE8F00FF 00020000
	s_mov_b32 s39, 0x20000                                     // 000000002B74: BEA700FF 00020000
	s_mov_b32 s11, 0x20000                                     // 000000002B7C: BE8B00FF 00020000
	s_and_b32 s21, s21, 0xffff                                 // 000000002B84: 8615FF15 0000FFFF
	s_and_b32 s25, s25, 0xffff                                 // 000000002B8C: 8619FF19 0000FFFF
	s_and_b32 s29, s29, 0xffff                                 // 000000002B94: 861DFF1D 0000FFFF
	s_and_b32 s33, s33, 0xffff                                 // 000000002B9C: 8621FF21 0000FFFF
	s_and_b32 s13, s13, 0xffff                                 // 000000002BA4: 860DFF0D 0000FFFF
	s_and_b32 s37, s37, 0xffff                                 // 000000002BAC: 8625FF25 0000FFFF
	s_or_b32 s21, s21, 0x40000                                 // 000000002BB4: 8715FF15 00040000
	s_or_b32 s25, s25, 0x40000                                 // 000000002BBC: 8719FF19 00040000
	s_or_b32 s29, s29, 0x40000                                 // 000000002BC4: 871DFF1D 00040000
	s_or_b32 s33, s33, 0x40000                                 // 000000002BCC: 8721FF21 00040000
	s_or_b32 s13, s13, 0x40000                                 // 000000002BD4: 870DFF0D 00040000
	s_or_b32 s37, s37, 0x40000                                 // 000000002BDC: 8725FF25 00040000
	s_mov_b32 s42, -16                                         // 000000002BE4: BEAA00D0
	s_mov_b32 s43, 0x20000                                     // 000000002BE8: BEAB00FF 00020000
	s_and_b32 s41, s41, 0xffff                                 // 000000002BF0: 8629FF29 0000FFFF
	s_or_b32 s41, s41, 0x40000                                 // 000000002BF8: 8729FF29 00040000
	v_accvgpr_write_b32 a159, 0                                // 000000002C00: D3D9409F 18000080
	v_mov_b32_e32 v194, 0                                      // 000000002C08: 7F840280
	s_waitcnt lgkmcnt(0)                                       // 000000002C0C: BF8CC07F
	s_mul_i32 s60, s3, 0x70                                    // 000000002C10: 923CFF03 00000070
	s_cmp_lt_i32 s60, s48                                      // 000000002C18: BF04303C
	s_cbranch_scc0 label_3512                                  // 000000002C1C: BF843487
	s_mov_b32 s80, 0                                           // 000000002C20: BED00080
	s_lshr_b32 s81, s64, s88                                   // 000000002C24: 8F515840
	s_mul_i32 s60, s3, 4                                       // 000000002C28: 923C8403
	s_add_u32 s44, s60, s44                                    // 000000002C2C: 802C2C3C
	s_addc_u32 s45, 0, s45                                     // 000000002C30: 822D2D80
	s_load_dword s5, s[44:45], 0x0                             // 000000002C34: C0020156 00000000
	s_mul_i32 s60, s3, 0x70                                    // 000000002C3C: 923CFF03 00000070
	s_mul_i32 s60, 4, s60                                      // 000000002C44: 923C3C84
	s_add_u32 s12, s60, s12                                    // 000000002C48: 800C0C3C
	s_addc_u32 s13, 0, s13                                     // 000000002C4C: 820D0D80
	v_and_b32_e32 v4, 15, v0                                   // 000000002C50: 2608008F
	v_lshlrev_b32_e32 v4, 2, v4                                // 000000002C54: 24080882
	buffer_load_dword v30, v4, s[12:15], 0 offen               // 000000002C58: E0501000 80031E04
	v_add_u32_e32 v4, 64, v4                                   // 000000002C60: 680808C0
	buffer_load_dword v31, v4, s[12:15], 0 offen               // 000000002C64: E0501000 80031F04
	v_add_u32_e32 v4, 64, v4                                   // 000000002C6C: 680808C0
	buffer_load_dword v32, v4, s[12:15], 0 offen               // 000000002C70: E0501000 80032004
	v_add_u32_e32 v4, 64, v4                                   // 000000002C78: 680808C0
	buffer_load_dword v33, v4, s[12:15], 0 offen               // 000000002C7C: E0501000 80032104
	v_add_u32_e32 v4, 64, v4                                   // 000000002C84: 680808C0
	buffer_load_dword v34, v4, s[12:15], 0 offen               // 000000002C88: E0501000 80032204
	v_add_u32_e32 v4, 64, v4                                   // 000000002C90: 680808C0
	buffer_load_dword v35, v4, s[12:15], 0 offen               // 000000002C94: E0501000 80032304
	v_add_u32_e32 v4, 64, v4                                   // 000000002C9C: 680808C0
	buffer_load_dword v36, v4, s[12:15], 0 offen               // 000000002CA0: E0501000 80032404
	v_add_u32_e32 v4, 64, v4                                   // 000000002CA8: 680808C0
	s_mul_i32 s60, 4, s7                                       // 000000002CAC: 923C0784
	v_lshlrev_b32_e32 v4, 4, v0                                // 000000002CB0: 24080084
	v_add_u32_e32 v4, s60, v4                                  // 000000002CB4: 6808083C
	buffer_load_dword v3, v4, s[12:15], 0 offen                // 000000002CB8: E0501000 80030304
	v_mov_b32_e32 v76, 0                                       // 000000002CC0: 7E980280
	v_mov_b32_e32 v132, 0                                      // 000000002CC4: 7F080280
	v_mov_b32_e32 v77, 0                                       // 000000002CC8: 7E9A0280
	v_mov_b32_e32 v133, 0                                      // 000000002CCC: 7F0A0280
	v_mov_b32_e32 v78, 0                                       // 000000002CD0: 7E9C0280
	v_mov_b32_e32 v134, 0                                      // 000000002CD4: 7F0C0280
	v_mov_b32_e32 v79, 0                                       // 000000002CD8: 7E9E0280
	v_mov_b32_e32 v135, 0                                      // 000000002CDC: 7F0E0280
	v_mov_b32_e32 v80, 0                                       // 000000002CE0: 7EA00280
	v_mov_b32_e32 v136, 0                                      // 000000002CE4: 7F100280
	v_mov_b32_e32 v81, 0                                       // 000000002CE8: 7EA20280
	v_mov_b32_e32 v137, 0                                      // 000000002CEC: 7F120280
	v_mov_b32_e32 v82, 0                                       // 000000002CF0: 7EA40280
	v_mov_b32_e32 v138, 0                                      // 000000002CF4: 7F140280
	v_mov_b32_e32 v83, 0                                       // 000000002CF8: 7EA60280
	v_mov_b32_e32 v139, 0                                      // 000000002CFC: 7F160280
	v_mov_b32_e32 v84, 0                                       // 000000002D00: 7EA80280
	v_mov_b32_e32 v140, 0                                      // 000000002D04: 7F180280
	v_mov_b32_e32 v85, 0                                       // 000000002D08: 7EAA0280
	v_mov_b32_e32 v141, 0                                      // 000000002D0C: 7F1A0280
	v_mov_b32_e32 v86, 0                                       // 000000002D10: 7EAC0280
	v_mov_b32_e32 v142, 0                                      // 000000002D14: 7F1C0280
	v_mov_b32_e32 v87, 0                                       // 000000002D18: 7EAE0280
	v_mov_b32_e32 v143, 0                                      // 000000002D1C: 7F1E0280
	v_mov_b32_e32 v88, 0                                       // 000000002D20: 7EB00280
	v_mov_b32_e32 v144, 0                                      // 000000002D24: 7F200280
	v_mov_b32_e32 v89, 0                                       // 000000002D28: 7EB20280
	v_mov_b32_e32 v145, 0                                      // 000000002D2C: 7F220280
	v_mov_b32_e32 v90, 0                                       // 000000002D30: 7EB40280
	v_mov_b32_e32 v146, 0                                      // 000000002D34: 7F240280
	v_mov_b32_e32 v91, 0                                       // 000000002D38: 7EB60280
	v_mov_b32_e32 v147, 0                                      // 000000002D3C: 7F260280
	v_mov_b32_e32 v92, 0                                       // 000000002D40: 7EB80280
	v_mov_b32_e32 v148, 0                                      // 000000002D44: 7F280280
	v_mov_b32_e32 v93, 0                                       // 000000002D48: 7EBA0280
	v_mov_b32_e32 v149, 0                                      // 000000002D4C: 7F2A0280
	v_mov_b32_e32 v94, 0                                       // 000000002D50: 7EBC0280
	v_mov_b32_e32 v150, 0                                      // 000000002D54: 7F2C0280
	v_mov_b32_e32 v95, 0                                       // 000000002D58: 7EBE0280
	v_mov_b32_e32 v151, 0                                      // 000000002D5C: 7F2E0280
	v_mov_b32_e32 v96, 0                                       // 000000002D60: 7EC00280
	v_mov_b32_e32 v152, 0                                      // 000000002D64: 7F300280
	v_mov_b32_e32 v97, 0                                       // 000000002D68: 7EC20280
	v_mov_b32_e32 v153, 0                                      // 000000002D6C: 7F320280
	v_mov_b32_e32 v98, 0                                       // 000000002D70: 7EC40280
	v_mov_b32_e32 v154, 0                                      // 000000002D74: 7F340280
	v_mov_b32_e32 v99, 0                                       // 000000002D78: 7EC60280
	v_mov_b32_e32 v155, 0                                      // 000000002D7C: 7F360280
	v_mov_b32_e32 v100, 0                                      // 000000002D80: 7EC80280
	v_mov_b32_e32 v156, 0                                      // 000000002D84: 7F380280
	v_mov_b32_e32 v101, 0                                      // 000000002D88: 7ECA0280
	v_mov_b32_e32 v157, 0                                      // 000000002D8C: 7F3A0280
	v_mov_b32_e32 v102, 0                                      // 000000002D90: 7ECC0280
	v_mov_b32_e32 v158, 0                                      // 000000002D94: 7F3C0280
	v_mov_b32_e32 v103, 0                                      // 000000002D98: 7ECE0280
	v_mov_b32_e32 v159, 0                                      // 000000002D9C: 7F3E0280
	v_mov_b32_e32 v104, 0                                      // 000000002DA0: 7ED00280
	v_mov_b32_e32 v160, 0                                      // 000000002DA4: 7F400280
	v_mov_b32_e32 v105, 0                                      // 000000002DA8: 7ED20280
	v_mov_b32_e32 v161, 0                                      // 000000002DAC: 7F420280
	v_mov_b32_e32 v106, 0                                      // 000000002DB0: 7ED40280
	v_mov_b32_e32 v162, 0                                      // 000000002DB4: 7F440280
	v_mov_b32_e32 v107, 0                                      // 000000002DB8: 7ED60280
	v_mov_b32_e32 v163, 0                                      // 000000002DBC: 7F460280
	v_mov_b32_e32 v108, 0                                      // 000000002DC0: 7ED80280
	v_mov_b32_e32 v164, 0                                      // 000000002DC4: 7F480280
	v_mov_b32_e32 v109, 0                                      // 000000002DC8: 7EDA0280
	v_mov_b32_e32 v165, 0                                      // 000000002DCC: 7F4A0280
	v_mov_b32_e32 v110, 0                                      // 000000002DD0: 7EDC0280
	v_mov_b32_e32 v166, 0                                      // 000000002DD4: 7F4C0280
	v_mov_b32_e32 v111, 0                                      // 000000002DD8: 7EDE0280
	v_mov_b32_e32 v167, 0                                      // 000000002DDC: 7F4E0280
	v_mov_b32_e32 v112, 0                                      // 000000002DE0: 7EE00280
	v_mov_b32_e32 v168, 0                                      // 000000002DE4: 7F500280
	v_mov_b32_e32 v113, 0                                      // 000000002DE8: 7EE20280
	v_mov_b32_e32 v169, 0                                      // 000000002DEC: 7F520280
	v_mov_b32_e32 v114, 0                                      // 000000002DF0: 7EE40280
	v_mov_b32_e32 v170, 0                                      // 000000002DF4: 7F540280
	v_mov_b32_e32 v115, 0                                      // 000000002DF8: 7EE60280
	v_mov_b32_e32 v171, 0                                      // 000000002DFC: 7F560280
	v_mov_b32_e32 v116, 0                                      // 000000002E00: 7EE80280
	v_mov_b32_e32 v172, 0                                      // 000000002E04: 7F580280
	v_mov_b32_e32 v117, 0                                      // 000000002E08: 7EEA0280
	v_mov_b32_e32 v173, 0                                      // 000000002E0C: 7F5A0280
	v_mov_b32_e32 v118, 0                                      // 000000002E10: 7EEC0280
	v_mov_b32_e32 v174, 0                                      // 000000002E14: 7F5C0280
	v_mov_b32_e32 v119, 0                                      // 000000002E18: 7EEE0280
	v_mov_b32_e32 v175, 0                                      // 000000002E1C: 7F5E0280
	v_mov_b32_e32 v120, 0                                      // 000000002E20: 7EF00280
	v_mov_b32_e32 v176, 0                                      // 000000002E24: 7F600280
	v_mov_b32_e32 v121, 0                                      // 000000002E28: 7EF20280
	v_mov_b32_e32 v177, 0                                      // 000000002E2C: 7F620280
	v_mov_b32_e32 v122, 0                                      // 000000002E30: 7EF40280
	v_mov_b32_e32 v178, 0                                      // 000000002E34: 7F640280
	v_mov_b32_e32 v123, 0                                      // 000000002E38: 7EF60280
	v_mov_b32_e32 v179, 0                                      // 000000002E3C: 7F660280
	v_mov_b32_e32 v124, 0                                      // 000000002E40: 7EF80280
	v_mov_b32_e32 v180, 0                                      // 000000002E44: 7F680280
	v_mov_b32_e32 v125, 0                                      // 000000002E48: 7EFA0280
	v_mov_b32_e32 v181, 0                                      // 000000002E4C: 7F6A0280
	v_mov_b32_e32 v126, 0                                      // 000000002E50: 7EFC0280
	v_mov_b32_e32 v182, 0                                      // 000000002E54: 7F6C0280
	v_mov_b32_e32 v127, 0                                      // 000000002E58: 7EFE0280
	v_mov_b32_e32 v183, 0                                      // 000000002E5C: 7F6E0280
	v_mov_b32_e32 v128, 0                                      // 000000002E60: 7F000280
	v_mov_b32_e32 v184, 0                                      // 000000002E64: 7F700280
	v_mov_b32_e32 v129, 0                                      // 000000002E68: 7F020280
	v_mov_b32_e32 v185, 0                                      // 000000002E6C: 7F720280
	v_mov_b32_e32 v130, 0                                      // 000000002E70: 7F040280
	v_mov_b32_e32 v186, 0                                      // 000000002E74: 7F740280
	v_mov_b32_e32 v131, 0                                      // 000000002E78: 7F060280
	v_mov_b32_e32 v187, 0                                      // 000000002E7C: 7F760280
	s_mul_i32 s60, s2, 0x100                                   // 000000002E80: 923CFF02 00000100
	s_cmp_eq_u32 s88, 0                                        // 000000002E88: BF068058
	s_cselect_b32 s61, 1, 2                                    // 000000002E8C: 853D8281
	s_mul_i32 s60, s60, s61                                    // 000000002E90: 923C3D3C
	s_mov_b32 s90, s8                                          // 000000002E94: BEDA0008
	s_mov_b32 s91, s9                                          // 000000002E98: BEDB0009
	s_add_u32 s8, s60, s8                                      // 000000002E9C: 8008083C
	s_addc_u32 s9, 0, s9                                       // 000000002EA0: 82090980
	v_lshrrev_b32_e32 v4, 4, v0                                // 000000002EA4: 20080084
	v_mul_lo_u32 v20, 34, v4                                   // 000000002EA8: D2850014 000208A2
	v_and_b32_e32 v4, 15, v0                                   // 000000002EB0: 2608008F
	v_mul_lo_u32 v5, 2, v4                                     // 000000002EB4: D2850005 00020882
	v_add_u32_e32 v20, v5, v20                                 // 000000002EBC: 68282905
	s_mul_i32 s60, s7, 0x88                                    // 000000002EC0: 923CFF07 00000088
	v_add_u32_e32 v20, s60, v20                                // 000000002EC8: 6828283C
	v_lshlrev_b32_e32 v20, 2, v20                              // 000000002ECC: 24282882
	v_and_b32_e32 v4, 31, v0                                   // 000000002ED0: 2608009F
	v_lshrrev_b32_e32 v4, 1, v4                                // 000000002ED4: 20080881
	v_mul_lo_u32 v21, 34, v4                                   // 000000002ED8: D2850015 000208A2
	v_lshrrev_b32_e32 v4, 5, v0                                // 000000002EE0: 20080085
	v_mul_lo_u32 v4, 8, v4                                     // 000000002EE4: D2850004 00020888
	v_add_u32_e32 v21, v21, v4                                 // 000000002EEC: 682A0915
	v_and_b32_e32 v5, 1, v0                                    // 000000002EF0: 260A0081
	v_add_u32_e32 v21, v5, v21                                 // 000000002EF4: 682A2B05
	s_mul_i32 s60, s7, 2                                       // 000000002EF8: 923C8207
	v_add_u32_e32 v21, s60, v21                                // 000000002EFC: 682A2A3C
	v_lshlrev_b32_e32 v21, 2, v21                              // 000000002F00: 242A2A82
	s_mul_i32 s60, s7, 0xe20                                   // 000000002F04: 923CFF07 00000E20
	s_add_u32 s48, 0, s60                                      // 000000002F0C: 80303C80
	s_add_u32 s49, 0x3880, s48                                 // 000000002F10: 803130FF 00003880
	s_add_u32 s50, 0x3880, s49                                 // 000000002F18: 803231FF 00003880
	v_lshrrev_b32_e32 v4, 4, v0                                // 000000002F20: 20080084
	v_lshlrev_b32_e32 v5, 2, v4                                // 000000002F24: 240A0882
	v_and_b32_e32 v4, 15, v0                                   // 000000002F28: 2608008F
	v_lshrrev_b32_e32 v6, 2, v4                                // 000000002F2C: 200C0882
	v_lshlrev_b32_e32 v6, 5, v6                                // 000000002F30: 240C0C85
	v_add_u32_e32 v5, v6, v5                                   // 000000002F34: 680A0B06
	v_and_b32_e32 v4, 3, v0                                    // 000000002F38: 26080083
	v_mul_u32_u24_e32 v6, 0x388, v4                            // 000000002F3C: 100C08FF 00000388
	v_add_u32_e32 v5, v6, v5                                   // 000000002F44: 680A0B06
	v_lshlrev_b32_e32 v2, 2, v5                                // 000000002F48: 24040A82
	s_waitcnt lgkmcnt(0)                                       // 000000002F4C: BF8CC07F
	s_mul_i32 s60, s2, 0x80                                    // 000000002F50: 923CFF02 00000080
	s_mul_i32 s60, s60, s69                                    // 000000002F58: 923C453C
	s_mul_i32 s61, s5, s72                                     // 000000002F5C: 923D4805
	s_add_u32 s60, s61, s60                                    // 000000002F60: 803C3C3D
	s_add_u32 s24, s60, s24                                    // 000000002F64: 8018183C
	s_addc_u32 s25, 0, s25                                     // 000000002F68: 82191980
	s_lshr_b32 s60, s64, s88                                   // 000000002F6C: 8F3C5840
	s_mul_i32 s60, s4, s60                                     // 000000002F70: 923C3C04
	s_lshr_b32 s60, s60, 7                                     // 000000002F74: 8F3C873C
	s_mul_i32 s60, s60, 0x800                                  // 000000002F78: 923CFF3C 00000800
	s_add_u32 s24, s60, s24                                    // 000000002F80: 8018183C
	s_addc_u32 s25, 0, s25                                     // 000000002F84: 82191980
	s_lshr_b32 s60, s69, s88                                   // 000000002F88: 8F3C5845
	s_mul_i32 s60, s4, s60                                     // 000000002F8C: 923C3C04
	s_add_u32 s20, s60, s20                                    // 000000002F90: 8014143C
	s_addc_u32 s21, 0, s21                                     // 000000002F94: 82151580
	s_mul_i32 s60, s7, 16                                      // 000000002F98: 923C9007
	s_mul_i32 s60, s60, s69                                    // 000000002F9C: 923C453C
	v_lshlrev_b32_e32 v72, 4, v0                               // 000000002FA0: 24900084
	v_add_u32_e32 v72, s60, v72                                // 000000002FA4: 6890903C
	s_mul_i32 s60, 64, s69                                     // 000000002FA8: 923C45C0
	v_add_u32_e32 v73, s60, v72                                // 000000002FAC: 6892903C
	s_mov_b32 s84, s24                                         // 000000002FB0: BED40018
	s_mov_b32 s85, s25                                         // 000000002FB4: BED50019
	s_mov_b32 s86, s26                                         // 000000002FB8: BED6001A
	s_mov_b32 s87, s27                                         // 000000002FBC: BED7001B
	s_mul_i32 s60, s69, s65                                    // 000000002FC0: 923C4145
	s_add_u32 s84, s60, s84                                    // 000000002FC4: 8054543C
	s_addc_u32 s85, 0, s85                                     // 000000002FC8: 82555580
	v_lshrrev_b32_e32 v4, 4, v0                                // 000000002FCC: 20080084
	v_lshlrev_b32_e32 v5, 2, v4                                // 000000002FD0: 240A0882
	v_and_b32_e32 v4, 15, v0                                   // 000000002FD4: 2608008F
	v_lshrrev_b32_e32 v6, 2, v4                                // 000000002FD8: 200C0882
	v_lshlrev_b32_e32 v6, 6, v6                                // 000000002FDC: 240C0C86
	v_add_u32_e32 v5, v6, v5                                   // 000000002FE0: 680A0B06
	v_and_b32_e32 v4, 3, v0                                    // 000000002FE4: 26080083
	v_add_u32_e32 v5, v4, v5                                   // 000000002FE8: 680A0B04
	v_lshlrev_b32_e32 v22, 2, v5                               // 000000002FEC: 242C0A82
	s_mul_i32 s60, s7, 16                                      // 000000002FF0: 923C9007
	s_mul_i32 s60, s60, 4                                      // 000000002FF4: 923C843C
	v_add_u32_e32 v22, s60, v22                                // 000000002FF8: 682C2C3C
	s_mul_i32 s60, s2, 0x80                                    // 000000002FFC: 923CFF02 00000080
	s_mul_i32 s60, s60, 4                                      // 000000003004: 923C843C
	s_mul_i32 s61, s5, s74                                     // 000000003008: 923D4A05
	s_add_u32 s61, s61, s60                                    // 00000000300C: 803D3C3D
	s_add_u32 s32, s61, s32                                    // 000000003010: 8020203D
	s_addc_u32 s33, 0, s33                                     // 000000003014: 82212180
	s_mov_b32 s57, 0x80                                        // 000000003018: BEB900FF 00000080
	s_mov_b32 s58, 0x800                                       // 000000003020: BEBA00FF 00000800
	s_mov_b32 s83, s58                                         // 000000003028: BED3003A
	s_mov_b32 s52, 0x7060302                                   // 00000000302C: BEB400FF 07060302
	s_mov_b32 s53, 0x400                                       // 000000003034: BEB500FF 00000400
	s_mov_b32 s54, 0x40100                                     // 00000000303C: BEB600FF 00040100
	s_mov_b32 s55, 0x4020100                                   // 000000003044: BEB700FF 04020100
	s_mov_b32 s6, 0x3fb8aa3b                                   // 00000000304C: BE8600FF 3FB8AA3B
	s_mov_b32 s78, 0xbd92220c                                  // 000000003054: BECE00FF BD92220C
	s_mov_b32 s79, 0xbd92220c                                  // 00000000305C: BECF00FF BD92220C
	s_mov_b32 m0, s48                                          // 000000003064: BEFC0030
	v_mov_b32_e32 v1, 0xbfcc4231                               // 000000003068: 7E0202FF BFCC4231
	v_mov_b32_e32 v17, 0xffff0000                              // 000000003070: 7E2202FF FFFF0000
	v_mov_b32_e32 v18, 0x7fff0000                              // 000000003078: 7E2402FF 7FFF0000
	v_mov_b32_e32 v19, 0x7fff                                  // 000000003080: 7E2602FF 00007FFF
	s_waitcnt vmcnt(0) expcnt(0) lgkmcnt(0)                    // 000000003088: BF8C0000
	s_mul_i32 s60, s3, 0x70                                    // 00000000308C: 923CFF03 00000070
	s_mul_i32 s60, 4, s60                                      // 000000003094: 923C3C84
	s_add_u32 s40, s60, s40                                    // 000000003098: 8028283C
	s_addc_u32 s41, 0, s41                                     // 00000000309C: 82292980
	v_and_b32_e32 v4, 15, v0                                   // 0000000030A0: 2608008F
	v_lshlrev_b32_e32 v4, 2, v4                                // 0000000030A4: 24080882
	buffer_load_dword v188, v4, s[40:43], 0 offen              // 0000000030A8: E0501000 800ABC04
	buffer_load_dword v189, v4, s[40:43], 0 offen offset:64    // 0000000030B0: E0501040 800ABD04
	buffer_load_dword v190, v4, s[40:43], 0 offen offset:128   // 0000000030B8: E0501080 800ABE04
	buffer_load_dword v191, v4, s[40:43], 0 offen offset:192   // 0000000030C0: E05010C0 800ABF04
	buffer_load_dword v192, v4, s[40:43], 0 offen offset:256   // 0000000030C8: E0501100 800AC004
	buffer_load_dword v193, v4, s[40:43], 0 offen offset:320   // 0000000030D0: E0501140 800AC104
	buffer_load_dword v194, v4, s[40:43], 0 offen offset:384   // 0000000030D8: E0501180 800AC204
	v_lshrrev_b32_e32 v4, 5, v0                                // 0000000030E0: 20080085
	v_xor_b32_e32 v5, 1, v4                                    // 0000000030E4: 2A0A0881
	v_readlane_b32 s82, v3, 0                                  // 0000000030E8: D2890052 00010103
	s_and_b32 s82, s82, 0xffffff                               // 0000000030F0: 8652FF52 00FFFFFF
	v_mul_lo_u32 v6, v5, s82                                   // 0000000030F8: D2850006 0000A505
	v_readlane_b32 s82, v3, 1                                  // 000000003100: D2890052 00010303
	s_and_b32 s82, s82, 0xffffff                               // 000000003108: 8652FF52 00FFFFFF
	v_mul_lo_u32 v7, v4, s82                                   // 000000003110: D2850007 0000A504
	v_add_u32_e32 v58, v6, v7                                  // 000000003118: 68740F06
	v_mul_lo_u32 v58, v58, s68                                 // 00000000311C: D285003A 0000893A
	v_readlane_b32 s82, v3, 2                                  // 000000003124: D2890052 00010503
	s_and_b32 s82, s82, 0xffffff                               // 00000000312C: 8652FF52 00FFFFFF
	v_mul_lo_u32 v6, v5, s82                                   // 000000003134: D2850006 0000A505
	v_readlane_b32 s82, v3, 3                                  // 00000000313C: D2890052 00010703
	s_and_b32 s82, s82, 0xffffff                               // 000000003144: 8652FF52 00FFFFFF
	v_mul_lo_u32 v7, v4, s82                                   // 00000000314C: D2850007 0000A504
	v_add_u32_e32 v59, v6, v7                                  // 000000003154: 68760F06
	v_mul_lo_u32 v59, v59, s68                                 // 000000003158: D285003B 0000893B
	v_readlane_b32 s82, v3, 4                                  // 000000003160: D2890052 00010903
	s_and_b32 s82, s82, 0xffffff                               // 000000003168: 8652FF52 00FFFFFF
	v_mul_lo_u32 v6, v5, s82                                   // 000000003170: D2850006 0000A505
	v_readlane_b32 s82, v3, 5                                  // 000000003178: D2890052 00010B03
	s_and_b32 s82, s82, 0xffffff                               // 000000003180: 8652FF52 00FFFFFF
	v_mul_lo_u32 v7, v4, s82                                   // 000000003188: D2850007 0000A504
	v_add_u32_e32 v60, v6, v7                                  // 000000003190: 68780F06
	v_mul_lo_u32 v60, v60, s68                                 // 000000003194: D285003C 0000893C
	v_readlane_b32 s82, v3, 6                                  // 00000000319C: D2890052 00010D03
	s_and_b32 s82, s82, 0xffffff                               // 0000000031A4: 8652FF52 00FFFFFF
	v_mul_lo_u32 v6, v5, s82                                   // 0000000031AC: D2850006 0000A505
	v_readlane_b32 s82, v3, 7                                  // 0000000031B4: D2890052 00010F03
	s_and_b32 s82, s82, 0xffffff                               // 0000000031BC: 8652FF52 00FFFFFF
	v_mul_lo_u32 v7, v4, s82                                   // 0000000031C4: D2850007 0000A504
	v_add_u32_e32 v61, v6, v7                                  // 0000000031CC: 687A0F06
	v_mul_lo_u32 v61, v61, s68                                 // 0000000031D0: D285003D 0000893D
	v_readlane_b32 s82, v3, 8                                  // 0000000031D8: D2890052 00011103
	s_and_b32 s82, s82, 0xffffff                               // 0000000031E0: 8652FF52 00FFFFFF
	v_mul_lo_u32 v6, v5, s82                                   // 0000000031E8: D2850006 0000A505
	v_readlane_b32 s82, v3, 9                                  // 0000000031F0: D2890052 00011303
	s_and_b32 s82, s82, 0xffffff                               // 0000000031F8: 8652FF52 00FFFFFF
	v_mul_lo_u32 v7, v4, s82                                   // 000000003200: D2850007 0000A504
	v_add_u32_e32 v62, v6, v7                                  // 000000003208: 687C0F06
	v_mul_lo_u32 v62, v62, s68                                 // 00000000320C: D285003E 0000893E
	v_readlane_b32 s82, v3, 10                                 // 000000003214: D2890052 00011503
	s_and_b32 s82, s82, 0xffffff                               // 00000000321C: 8652FF52 00FFFFFF
	v_mul_lo_u32 v6, v5, s82                                   // 000000003224: D2850006 0000A505
	v_readlane_b32 s82, v3, 11                                 // 00000000322C: D2890052 00011703
	s_and_b32 s82, s82, 0xffffff                               // 000000003234: 8652FF52 00FFFFFF
	v_mul_lo_u32 v7, v4, s82                                   // 00000000323C: D2850007 0000A504
	v_add_u32_e32 v63, v6, v7                                  // 000000003244: 687E0F06
	v_mul_lo_u32 v63, v63, s68                                 // 000000003248: D285003F 0000893F
	v_readlane_b32 s82, v3, 12                                 // 000000003250: D2890052 00011903
	s_and_b32 s82, s82, 0xffffff                               // 000000003258: 8652FF52 00FFFFFF
	v_mul_lo_u32 v6, v5, s82                                   // 000000003260: D2850006 0000A505
	v_readlane_b32 s82, v3, 13                                 // 000000003268: D2890052 00011B03
	s_and_b32 s82, s82, 0xffffff                               // 000000003270: 8652FF52 00FFFFFF
	v_mul_lo_u32 v7, v4, s82                                   // 000000003278: D2850007 0000A504
	v_add_u32_e32 v64, v6, v7                                  // 000000003280: 68800F06
	v_mul_lo_u32 v64, v64, s68                                 // 000000003284: D2850040 00008940
	v_readlane_b32 s82, v3, 14                                 // 00000000328C: D2890052 00011D03
	s_and_b32 s82, s82, 0xffffff                               // 000000003294: 8652FF52 00FFFFFF
	v_mul_lo_u32 v6, v5, s82                                   // 00000000329C: D2850006 0000A505
	v_readlane_b32 s82, v3, 15                                 // 0000000032A4: D2890052 00011F03
	s_and_b32 s82, s82, 0xffffff                               // 0000000032AC: 8652FF52 00FFFFFF
	v_mul_lo_u32 v7, v4, s82                                   // 0000000032B4: D2850007 0000A504
	v_add_u32_e32 v65, v6, v7                                  // 0000000032BC: 68820F06
	v_mul_lo_u32 v65, v65, s68                                 // 0000000032C0: D2850041 00008941
	v_readlane_b32 s82, v3, 16                                 // 0000000032C8: D2890052 00012103
	s_and_b32 s82, s82, 0xffffff                               // 0000000032D0: 8652FF52 00FFFFFF
	v_mul_lo_u32 v6, v5, s82                                   // 0000000032D8: D2850006 0000A505
	v_readlane_b32 s82, v3, 17                                 // 0000000032E0: D2890052 00012303
	s_and_b32 s82, s82, 0xffffff                               // 0000000032E8: 8652FF52 00FFFFFF
	v_mul_lo_u32 v7, v4, s82                                   // 0000000032F0: D2850007 0000A504
	v_add_u32_e32 v66, v6, v7                                  // 0000000032F8: 68840F06
	v_mul_lo_u32 v66, v66, s68                                 // 0000000032FC: D2850042 00008942
	v_readlane_b32 s82, v3, 18                                 // 000000003304: D2890052 00012503
	s_and_b32 s82, s82, 0xffffff                               // 00000000330C: 8652FF52 00FFFFFF
	v_mul_lo_u32 v6, v5, s82                                   // 000000003314: D2850006 0000A505
	v_readlane_b32 s82, v3, 19                                 // 00000000331C: D2890052 00012703
	s_and_b32 s82, s82, 0xffffff                               // 000000003324: 8652FF52 00FFFFFF
	v_mul_lo_u32 v7, v4, s82                                   // 00000000332C: D2850007 0000A504
	v_add_u32_e32 v67, v6, v7                                  // 000000003334: 68860F06
	v_mul_lo_u32 v67, v67, s68                                 // 000000003338: D2850043 00008943
	v_readlane_b32 s82, v3, 20                                 // 000000003340: D2890052 00012903
	s_and_b32 s82, s82, 0xffffff                               // 000000003348: 8652FF52 00FFFFFF
	v_mul_lo_u32 v6, v5, s82                                   // 000000003350: D2850006 0000A505
	v_readlane_b32 s82, v3, 21                                 // 000000003358: D2890052 00012B03
	s_and_b32 s82, s82, 0xffffff                               // 000000003360: 8652FF52 00FFFFFF
	v_mul_lo_u32 v7, v4, s82                                   // 000000003368: D2850007 0000A504
	v_add_u32_e32 v68, v6, v7                                  // 000000003370: 68880F06
	v_mul_lo_u32 v68, v68, s68                                 // 000000003374: D2850044 00008944
	v_readlane_b32 s82, v3, 22                                 // 00000000337C: D2890052 00012D03
	s_and_b32 s82, s82, 0xffffff                               // 000000003384: 8652FF52 00FFFFFF
	v_mul_lo_u32 v6, v5, s82                                   // 00000000338C: D2850006 0000A505
	v_readlane_b32 s82, v3, 23                                 // 000000003394: D2890052 00012F03
	s_and_b32 s82, s82, 0xffffff                               // 00000000339C: 8652FF52 00FFFFFF
	v_mul_lo_u32 v7, v4, s82                                   // 0000000033A4: D2850007 0000A504
	v_add_u32_e32 v69, v6, v7                                  // 0000000033AC: 688A0F06
	v_mul_lo_u32 v69, v69, s68                                 // 0000000033B0: D2850045 00008945
	v_readlane_b32 s82, v3, 24                                 // 0000000033B8: D2890052 00013103
	s_and_b32 s82, s82, 0xffffff                               // 0000000033C0: 8652FF52 00FFFFFF
	v_mul_lo_u32 v6, v5, s82                                   // 0000000033C8: D2850006 0000A505
	v_readlane_b32 s82, v3, 25                                 // 0000000033D0: D2890052 00013303
	s_and_b32 s82, s82, 0xffffff                               // 0000000033D8: 8652FF52 00FFFFFF
	v_mul_lo_u32 v7, v4, s82                                   // 0000000033E0: D2850007 0000A504
	v_add_u32_e32 v70, v6, v7                                  // 0000000033E8: 688C0F06
	v_mul_lo_u32 v70, v70, s68                                 // 0000000033EC: D2850046 00008946
	v_readlane_b32 s82, v3, 26                                 // 0000000033F4: D2890052 00013503
	s_and_b32 s82, s82, 0xffffff                               // 0000000033FC: 8652FF52 00FFFFFF
	v_mul_lo_u32 v6, v5, s82                                   // 000000003404: D2850006 0000A505
	v_readlane_b32 s82, v3, 27                                 // 00000000340C: D2890052 00013703
	s_and_b32 s82, s82, 0xffffff                               // 000000003414: 8652FF52 00FFFFFF
	v_mul_lo_u32 v7, v4, s82                                   // 00000000341C: D2850007 0000A504
	v_add_u32_e32 v71, v6, v7                                  // 000000003424: 688E0F06
	v_mul_lo_u32 v71, v71, s68                                 // 000000003428: D2850047 00008947
	v_and_b32_e32 v4, 31, v0                                   // 000000003430: 2608009F
	v_lshlrev_b32_e32 v4, 2, v4                                // 000000003434: 24080882
	v_add_u32_e32 v58, v58, v4                                 // 000000003438: 6874093A
	v_add_u32_e32 v59, v59, v4                                 // 00000000343C: 6876093B
	v_add_u32_e32 v60, v60, v4                                 // 000000003440: 6878093C
	v_add_u32_e32 v61, v61, v4                                 // 000000003444: 687A093D
	v_add_u32_e32 v62, v62, v4                                 // 000000003448: 687C093E
	v_add_u32_e32 v63, v63, v4                                 // 00000000344C: 687E093F
	v_add_u32_e32 v64, v64, v4                                 // 000000003450: 68800940
	v_add_u32_e32 v65, v65, v4                                 // 000000003454: 68820941
	;; [unrolled: 1-line block ×3, first 2 shown]
	v_add_u32_e32 v67, v67, v4                                 // 00000000345C: 68860943
	v_add_u32_e32 v68, v68, v4                                 // 000000003460: 68880944
	v_add_u32_e32 v69, v69, v4                                 // 000000003464: 688A0945
	v_add_u32_e32 v70, v70, v4                                 // 000000003468: 688C0946
	v_add_u32_e32 v71, v71, v4                                 // 00000000346C: 688E0947
	v_and_b32_e32 v30, 0xffffff, v30                           // 000000003470: 263C3CFF 00FFFFFF
	v_lshlrev_b32_e32 v30, 2, v30                              // 000000003478: 243C3C82
	v_and_b32_e32 v31, 0xffffff, v31                           // 00000000347C: 263E3EFF 00FFFFFF
	v_lshlrev_b32_e32 v31, 2, v31                              // 000000003484: 243E3E82
	v_and_b32_e32 v32, 0xffffff, v32                           // 000000003488: 264040FF 00FFFFFF
	v_lshlrev_b32_e32 v32, 2, v32                              // 000000003490: 24404082
	v_and_b32_e32 v33, 0xffffff, v33                           // 000000003494: 264242FF 00FFFFFF
	v_lshlrev_b32_e32 v33, 2, v33                              // 00000000349C: 24424282
	v_and_b32_e32 v34, 0xffffff, v34                           // 0000000034A0: 264444FF 00FFFFFF
	v_lshlrev_b32_e32 v34, 2, v34                              // 0000000034A8: 24444482
	v_and_b32_e32 v35, 0xffffff, v35                           // 0000000034AC: 264646FF 00FFFFFF
	v_lshlrev_b32_e32 v35, 2, v35                              // 0000000034B4: 24464682
	v_and_b32_e32 v36, 0xffffff, v36                           // 0000000034B8: 264848FF 00FFFFFF
	v_lshlrev_b32_e32 v36, 2, v36                              // 0000000034C0: 24484882
	s_lshl_b32 s3, s66, 2                                      // 0000000034C4: 8E038242
	buffer_load_dword v37, v30, s[28:31], 0 offen              // 0000000034C8: E0501000 8007251E
	buffer_load_dword v38, v31, s[28:31], 0 offen              // 0000000034D0: E0501000 8007261F
	buffer_load_dword v39, v32, s[28:31], 0 offen              // 0000000034D8: E0501000 80072720
	buffer_load_dword v40, v33, s[28:31], 0 offen              // 0000000034E0: E0501000 80072821
	buffer_load_dword v41, v34, s[28:31], 0 offen              // 0000000034E8: E0501000 80072922
	buffer_load_dword v42, v35, s[28:31], 0 offen              // 0000000034F0: E0501000 80072A23
	buffer_load_dword v43, v36, s[28:31], 0 offen              // 0000000034F8: E0501000 80072B24
	buffer_load_dword v24, v22, s[32:35], 0 offen              // 000000003500: E0501000 80081816
	s_mul_i32 s60, 4, s65                                      // 000000003508: 923C4184
	s_add_u32 s32, s60, s32                                    // 00000000350C: 8020203C
	s_addc_u32 s33, 0, s33                                     // 000000003510: 82212180
	buffer_load_dword v27, v22, s[32:35], 0 offen              // 000000003514: E0501000 80081B16
	buffer_load_dword v58, s[20:23], 0 offen lds               // 00000000351C: E0511000 8005003A
	s_add_u32 m0, 0x100, s48                                   // 000000003524: 807C30FF 00000100
	buffer_load_dword v59, s[20:23], 0 offen lds               // 00000000352C: E0511000 8005003B
	s_add_u32 m0, 0x200, s48                                   // 000000003534: 807C30FF 00000200
	buffer_load_dword v60, s[20:23], 0 offen lds               // 00000000353C: E0511000 8005003C
	s_add_u32 m0, 0x300, s48                                   // 000000003544: 807C30FF 00000300
	buffer_load_dword v61, s[20:23], 0 offen lds               // 00000000354C: E0511000 8005003D
	s_add_u32 m0, 0x400, s48                                   // 000000003554: 807C30FF 00000400
	buffer_load_dword v62, s[20:23], 0 offen lds               // 00000000355C: E0511000 8005003E
	s_add_u32 m0, 0x500, s48                                   // 000000003564: 807C30FF 00000500
	buffer_load_dword v63, s[20:23], 0 offen lds               // 00000000356C: E0511000 8005003F
	s_add_u32 m0, 0x600, s48                                   // 000000003574: 807C30FF 00000600
	buffer_load_dword v64, s[20:23], 0 offen lds               // 00000000357C: E0511000 80050040
	s_add_u32 m0, 0x700, s48                                   // 000000003584: 807C30FF 00000700
	buffer_load_dword v65, s[20:23], 0 offen lds               // 00000000358C: E0511000 80050041
	s_add_u32 m0, 0x800, s48                                   // 000000003594: 807C30FF 00000800
	buffer_load_dword v66, s[20:23], 0 offen lds               // 00000000359C: E0511000 80050042
	s_add_u32 m0, 0x900, s48                                   // 0000000035A4: 807C30FF 00000900
	buffer_load_dword v67, s[20:23], 0 offen lds               // 0000000035AC: E0511000 80050043
	s_add_u32 m0, 0xa00, s48                                   // 0000000035B4: 807C30FF 00000A00
	buffer_load_dword v68, s[20:23], 0 offen lds               // 0000000035BC: E0511000 80050044
	s_add_u32 m0, 0xb00, s48                                   // 0000000035C4: 807C30FF 00000B00
	buffer_load_dword v69, s[20:23], 0 offen lds               // 0000000035CC: E0511000 80050045
	s_add_u32 m0, 0xc00, s48                                   // 0000000035D4: 807C30FF 00000C00
	buffer_load_dword v70, s[20:23], 0 offen lds               // 0000000035DC: E0511000 80050046
	s_add_u32 m0, 0xd00, s48                                   // 0000000035E4: 807C30FF 00000D00
	buffer_load_dword v71, s[20:23], 0 offen lds               // 0000000035EC: E0511000 80050047
	s_add_u32 m0, 0, s49                                       // 0000000035F4: 807C3180
	s_add_u32 s20, s57, s20                                    // 0000000035F8: 80141439
	s_addc_u32 s21, 0, s21                                     // 0000000035FC: 82151580
	buffer_load_dwordx4 a[112:115], v72, s[24:27], 0 offen     // 000000003600: E05C1000 80867048
	buffer_load_dwordx4 a[116:119], v72, s[24:27], 0 offen offset:1024// 000000003608: E05C1400 80867448
	buffer_load_dwordx4 a[120:123], v73, s[24:27], 0 offen     // 000000003610: E05C1000 80867849
	buffer_load_dwordx4 a[124:127], v73, s[24:27], 0 offen offset:1024// 000000003618: E05C1400 80867C49
	s_add_u32 s24, s58, s24                                    // 000000003620: 8018183A
	s_addc_u32 s25, 0, s25                                     // 000000003624: 82191980
	buffer_load_dword v58, s[20:23], 0 offen lds               // 000000003628: E0511000 8005003A
	s_add_u32 m0, 0x100, s49                                   // 000000003630: 807C31FF 00000100
	buffer_load_dword v59, s[20:23], 0 offen lds               // 000000003638: E0511000 8005003B
	s_add_u32 m0, 0x200, s49                                   // 000000003640: 807C31FF 00000200
	buffer_load_dword v60, s[20:23], 0 offen lds               // 000000003648: E0511000 8005003C
	s_add_u32 m0, 0x300, s49                                   // 000000003650: 807C31FF 00000300
	buffer_load_dword v61, s[20:23], 0 offen lds               // 000000003658: E0511000 8005003D
	s_add_u32 m0, 0x400, s49                                   // 000000003660: 807C31FF 00000400
	buffer_load_dword v62, s[20:23], 0 offen lds               // 000000003668: E0511000 8005003E
	s_add_u32 m0, 0x500, s49                                   // 000000003670: 807C31FF 00000500
	buffer_load_dword v63, s[20:23], 0 offen lds               // 000000003678: E0511000 8005003F
	s_add_u32 m0, 0x600, s49                                   // 000000003680: 807C31FF 00000600
	buffer_load_dword v64, s[20:23], 0 offen lds               // 000000003688: E0511000 80050040
	s_add_u32 m0, 0x700, s49                                   // 000000003690: 807C31FF 00000700
	buffer_load_dword v65, s[20:23], 0 offen lds               // 000000003698: E0511000 80050041
	s_add_u32 m0, 0x800, s49                                   // 0000000036A0: 807C31FF 00000800
	buffer_load_dword v66, s[20:23], 0 offen lds               // 0000000036A8: E0511000 80050042
	s_add_u32 m0, 0x900, s49                                   // 0000000036B0: 807C31FF 00000900
	buffer_load_dword v67, s[20:23], 0 offen lds               // 0000000036B8: E0511000 80050043
	s_add_u32 m0, 0xa00, s49                                   // 0000000036C0: 807C31FF 00000A00
	buffer_load_dword v68, s[20:23], 0 offen lds               // 0000000036C8: E0511000 80050044
	s_add_u32 m0, 0xb00, s49                                   // 0000000036D0: 807C31FF 00000B00
	buffer_load_dword v69, s[20:23], 0 offen lds               // 0000000036D8: E0511000 80050045
	s_add_u32 m0, 0xc00, s49                                   // 0000000036E0: 807C31FF 00000C00
	buffer_load_dword v70, s[20:23], 0 offen lds               // 0000000036E8: E0511000 80050046
	s_add_u32 m0, 0xd00, s49                                   // 0000000036F0: 807C31FF 00000D00
	buffer_load_dword v71, s[20:23], 0 offen lds               // 0000000036F8: E0511000 80050047
	s_add_u32 m0, 0, s50                                       // 000000003700: 807C3280
	s_add_u32 s20, s57, s20                                    // 000000003704: 80141439
	s_addc_u32 s21, 0, s21                                     // 000000003708: 82151580
	buffer_load_dwordx4 a[128:131], v72, s[84:87], 0 offen     // 00000000370C: E05C1000 80958048
	buffer_load_dwordx4 a[132:135], v72, s[84:87], 0 offen offset:1024// 000000003714: E05C1400 80958448
	buffer_load_dwordx4 a[136:139], v73, s[84:87], 0 offen     // 00000000371C: E05C1000 80958849
	buffer_load_dwordx4 a[140:143], v73, s[84:87], 0 offen offset:1024// 000000003724: E05C1400 80958C49
	s_add_u32 s84, s83, s84                                    // 00000000372C: 80545453
	s_addc_u32 s85, 0, s85                                     // 000000003730: 82555580
	s_waitcnt vmcnt(22)                                        // 000000003734: BF8C4F76
	s_barrier                                                  // 000000003738: BF8A0000
	ds_read_b128 a[0:3], v2                                    // 00000000373C: DBFE0000 00000002
	ds_read_b128 a[4:7], v2 offset:64                          // 000000003744: DBFE0040 04000002
	ds_read_b128 a[8:11], v2 offset:512                        // 00000000374C: DBFE0200 08000002
	ds_read_b128 a[12:15], v2 offset:576                       // 000000003754: DBFE0240 0C000002
	ds_read_b128 a[16:19], v2 offset:1024                      // 00000000375C: DBFE0400 10000002
	ds_read_b128 a[20:23], v2 offset:1088                      // 000000003764: DBFE0440 14000002
	ds_read_b128 a[24:27], v2 offset:1536                      // 00000000376C: DBFE0600 18000002
	ds_read_b128 a[28:31], v2 offset:1600                      // 000000003774: DBFE0640 1C000002
	ds_read_b128 a[32:35], v2 offset:2048                      // 00000000377C: DBFE0800 20000002
	ds_read_b128 a[36:39], v2 offset:2112                      // 000000003784: DBFE0840 24000002
	ds_read_b128 a[40:43], v2 offset:2560                      // 00000000378C: DBFE0A00 28000002
	ds_read_b128 a[44:47], v2 offset:2624                      // 000000003794: DBFE0A40 2C000002
	ds_read_b128 a[48:51], v2 offset:3072                      // 00000000379C: DBFE0C00 30000002
	ds_read_b128 a[52:55], v2 offset:3136                      // 0000000037A4: DBFE0C40 34000002
	s_cmp_lt_i32 s7, 2                                         // 0000000037AC: BF048207
	s_cbranch_scc0 label_1C41                                  // 0000000037B0: BF8418D1

00000000000037b4 <label_036D>:
	s_waitcnt vmcnt(18) lgkmcnt(0)                             // 0000000037B4: BF8C4072
	v_mfma_f32_16x16x32_fp8_fp8 v[76:79], a[112:113], a[0:1], v[76:79]// 0000000037B8: D3F3004C 1D320170
	v_mfma_f32_16x16x32_fp8_fp8 v[76:79], a[114:115], a[2:3], v[76:79]// 0000000037C0: D3F3004C 1D320572
	buffer_load_dwordx4 a[144:147], v72, s[24:27], 0 offen     // 0000000037C8: E05C1000 80869048
	v_mfma_f32_16x16x32_fp8_fp8 v[76:79], a[116:117], a[4:5], v[76:79]// 0000000037D0: D3F3004C 1D320974
	v_mfma_f32_16x16x32_fp8_fp8 v[76:79], a[118:119], a[6:7], v[76:79]// 0000000037D8: D3F3004C 1D320D76
	v_mfma_f32_16x16x32_fp8_fp8 v[104:107], a[120:121], a[0:1], v[104:107]// 0000000037E0: D3F30068 1DA20178
	v_mfma_f32_16x16x32_fp8_fp8 v[104:107], a[122:123], a[2:3], v[104:107]// 0000000037E8: D3F30068 1DA2057A
	buffer_load_dwordx4 a[148:151], v72, s[24:27], 0 offen offset:1024// 0000000037F0: E05C1400 80869448
	v_mfma_f32_16x16x32_fp8_fp8 v[104:107], a[124:125], a[4:5], v[104:107]// 0000000037F8: D3F30068 1DA2097C
	v_mfma_f32_16x16x32_fp8_fp8 v[104:107], a[126:127], a[6:7], v[104:107]// 000000003800: D3F30068 1DA20D7E
	v_mfma_f32_16x16x32_fp8_fp8 v[80:83], a[112:113], a[8:9], v[80:83]// 000000003808: D3F30050 1D421170
	v_mfma_f32_16x16x32_fp8_fp8 v[80:83], a[114:115], a[10:11], v[80:83]// 000000003810: D3F30050 1D421572
	buffer_load_dwordx4 a[152:155], v73, s[24:27], 0 offen     // 000000003818: E05C1000 80869849
	v_mfma_f32_16x16x32_fp8_fp8 v[80:83], a[116:117], a[12:13], v[80:83]// 000000003820: D3F30050 1D421974
	v_mfma_f32_16x16x32_fp8_fp8 v[80:83], a[118:119], a[14:15], v[80:83]// 000000003828: D3F30050 1D421D76
	v_mfma_f32_16x16x32_fp8_fp8 v[108:111], a[120:121], a[8:9], v[108:111]// 000000003830: D3F3006C 1DB21178
	v_mfma_f32_16x16x32_fp8_fp8 v[108:111], a[122:123], a[10:11], v[108:111]// 000000003838: D3F3006C 1DB2157A
	buffer_load_dwordx4 a[156:159], v73, s[24:27], 0 offen offset:1024// 000000003840: E05C1400 80869C49
	buffer_load_dword v58, s[20:23], 0 offen lds               // 000000003848: E0511000 8005003A
	s_add_u32 m0, 0x100, s50                                   // 000000003850: 807C32FF 00000100
	v_mfma_f32_16x16x32_fp8_fp8 v[108:111], a[124:125], a[12:13], v[108:111]// 000000003858: D3F3006C 1DB2197C
	v_mfma_f32_16x16x32_fp8_fp8 v[108:111], a[126:127], a[14:15], v[108:111]// 000000003860: D3F3006C 1DB21D7E
	buffer_load_dword v59, s[20:23], 0 offen lds               // 000000003868: E0511000 8005003B
	s_add_u32 m0, 0x200, s50                                   // 000000003870: 807C32FF 00000200
	v_mfma_f32_16x16x32_fp8_fp8 v[84:87], a[112:113], a[16:17], v[84:87]// 000000003878: D3F30054 1D522170
	v_mfma_f32_16x16x32_fp8_fp8 v[84:87], a[114:115], a[18:19], v[84:87]// 000000003880: D3F30054 1D522572
	buffer_load_dword v60, s[20:23], 0 offen lds               // 000000003888: E0511000 8005003C
	s_add_u32 m0, 0x300, s50                                   // 000000003890: 807C32FF 00000300
	v_mfma_f32_16x16x32_fp8_fp8 v[84:87], a[116:117], a[20:21], v[84:87]// 000000003898: D3F30054 1D522974
	v_mfma_f32_16x16x32_fp8_fp8 v[84:87], a[118:119], a[22:23], v[84:87]// 0000000038A0: D3F30054 1D522D76
	buffer_load_dword v61, s[20:23], 0 offen lds               // 0000000038A8: E0511000 8005003D
	s_add_u32 m0, 0x400, s50                                   // 0000000038B0: 807C32FF 00000400
	v_mfma_f32_16x16x32_fp8_fp8 v[112:115], a[120:121], a[16:17], v[112:115]// 0000000038B8: D3F30070 1DC22178
	v_mfma_f32_16x16x32_fp8_fp8 v[112:115], a[122:123], a[18:19], v[112:115]// 0000000038C0: D3F30070 1DC2257A
	buffer_load_dword v62, s[20:23], 0 offen lds               // 0000000038C8: E0511000 8005003E
	s_add_u32 m0, 0x500, s50                                   // 0000000038D0: 807C32FF 00000500
	v_mfma_f32_16x16x32_fp8_fp8 v[112:115], a[124:125], a[20:21], v[112:115]// 0000000038D8: D3F30070 1DC2297C
	v_mfma_f32_16x16x32_fp8_fp8 v[112:115], a[126:127], a[22:23], v[112:115]// 0000000038E0: D3F30070 1DC22D7E
	buffer_load_dword v63, s[20:23], 0 offen lds               // 0000000038E8: E0511000 8005003F
	s_add_u32 m0, 0x600, s50                                   // 0000000038F0: 807C32FF 00000600
	v_mfma_f32_16x16x32_fp8_fp8 v[88:91], a[112:113], a[24:25], v[88:91]// 0000000038F8: D3F30058 1D623170
	v_mfma_f32_16x16x32_fp8_fp8 v[88:91], a[114:115], a[26:27], v[88:91]// 000000003900: D3F30058 1D623572
	buffer_load_dword v64, s[20:23], 0 offen lds               // 000000003908: E0511000 80050040
	s_add_u32 m0, 0x700, s50                                   // 000000003910: 807C32FF 00000700
	v_mfma_f32_16x16x32_fp8_fp8 v[88:91], a[116:117], a[28:29], v[88:91]// 000000003918: D3F30058 1D623974
	v_mfma_f32_16x16x32_fp8_fp8 v[88:91], a[118:119], a[30:31], v[88:91]// 000000003920: D3F30058 1D623D76
	buffer_load_dword v65, s[20:23], 0 offen lds               // 000000003928: E0511000 80050041
	s_add_u32 m0, 0x800, s50                                   // 000000003930: 807C32FF 00000800
	v_mfma_f32_16x16x32_fp8_fp8 v[116:119], a[120:121], a[24:25], v[116:119]// 000000003938: D3F30074 1DD23178
	v_mfma_f32_16x16x32_fp8_fp8 v[116:119], a[122:123], a[26:27], v[116:119]// 000000003940: D3F30074 1DD2357A
	buffer_load_dword v66, s[20:23], 0 offen lds               // 000000003948: E0511000 80050042
	s_add_u32 m0, 0x900, s50                                   // 000000003950: 807C32FF 00000900
	v_mfma_f32_16x16x32_fp8_fp8 v[116:119], a[124:125], a[28:29], v[116:119]// 000000003958: D3F30074 1DD2397C
	v_mfma_f32_16x16x32_fp8_fp8 v[116:119], a[126:127], a[30:31], v[116:119]// 000000003960: D3F30074 1DD23D7E
	buffer_load_dword v67, s[20:23], 0 offen lds               // 000000003968: E0511000 80050043
	s_add_u32 m0, 0xa00, s50                                   // 000000003970: 807C32FF 00000A00
	v_mfma_f32_16x16x32_fp8_fp8 v[92:95], a[112:113], a[32:33], v[92:95]// 000000003978: D3F3005C 1D724170
	v_mfma_f32_16x16x32_fp8_fp8 v[92:95], a[114:115], a[34:35], v[92:95]// 000000003980: D3F3005C 1D724572
	buffer_load_dword v68, s[20:23], 0 offen lds               // 000000003988: E0511000 80050044
	s_add_u32 m0, 0xb00, s50                                   // 000000003990: 807C32FF 00000B00
	v_mfma_f32_16x16x32_fp8_fp8 v[92:95], a[116:117], a[36:37], v[92:95]// 000000003998: D3F3005C 1D724974
	v_mfma_f32_16x16x32_fp8_fp8 v[92:95], a[118:119], a[38:39], v[92:95]// 0000000039A0: D3F3005C 1D724D76
	buffer_load_dword v69, s[20:23], 0 offen lds               // 0000000039A8: E0511000 80050045
	s_add_u32 m0, 0xc00, s50                                   // 0000000039B0: 807C32FF 00000C00
	v_mfma_f32_16x16x32_fp8_fp8 v[120:123], a[120:121], a[32:33], v[120:123]// 0000000039B8: D3F30078 1DE24178
	v_mfma_f32_16x16x32_fp8_fp8 v[120:123], a[122:123], a[34:35], v[120:123]// 0000000039C0: D3F30078 1DE2457A
	buffer_load_dword v70, s[20:23], 0 offen lds               // 0000000039C8: E0511000 80050046
	s_add_u32 m0, 0xd00, s50                                   // 0000000039D0: 807C32FF 00000D00
	v_mfma_f32_16x16x32_fp8_fp8 v[120:123], a[124:125], a[36:37], v[120:123]// 0000000039D8: D3F30078 1DE2497C
	v_mfma_f32_16x16x32_fp8_fp8 v[120:123], a[126:127], a[38:39], v[120:123]// 0000000039E0: D3F30078 1DE24D7E
	buffer_load_dword v71, s[20:23], 0 offen lds               // 0000000039E8: E0511000 80050047
	s_add_u32 m0, 0, s48                                       // 0000000039F0: 807C3080
	v_mfma_f32_16x16x32_fp8_fp8 v[96:99], a[112:113], a[40:41], v[96:99]// 0000000039F4: D3F30060 1D825170
	v_mfma_f32_16x16x32_fp8_fp8 v[96:99], a[114:115], a[42:43], v[96:99]// 0000000039FC: D3F30060 1D825572
	v_mfma_f32_16x16x32_fp8_fp8 v[96:99], a[116:117], a[44:45], v[96:99]// 000000003A04: D3F30060 1D825974
	v_mfma_f32_16x16x32_fp8_fp8 v[96:99], a[118:119], a[46:47], v[96:99]// 000000003A0C: D3F30060 1D825D76
	v_mfma_f32_16x16x32_fp8_fp8 v[124:127], a[120:121], a[40:41], v[124:127]// 000000003A14: D3F3007C 1DF25178
	v_mfma_f32_16x16x32_fp8_fp8 v[124:127], a[122:123], a[42:43], v[124:127]// 000000003A1C: D3F3007C 1DF2557A
	v_mfma_f32_16x16x32_fp8_fp8 v[124:127], a[124:125], a[44:45], v[124:127]// 000000003A24: D3F3007C 1DF2597C
	v_mfma_f32_16x16x32_fp8_fp8 v[124:127], a[126:127], a[46:47], v[124:127]// 000000003A2C: D3F3007C 1DF25D7E
	v_mfma_f32_16x16x32_fp8_fp8 v[100:103], a[112:113], a[48:49], v[100:103]// 000000003A34: D3F30064 1D926170
	v_mfma_f32_16x16x32_fp8_fp8 v[100:103], a[114:115], a[50:51], v[100:103]// 000000003A3C: D3F30064 1D926572
	v_mfma_f32_16x16x32_fp8_fp8 v[100:103], a[116:117], a[52:53], v[100:103]// 000000003A44: D3F30064 1D926974
	v_mfma_f32_16x16x32_fp8_fp8 v[100:103], a[118:119], a[54:55], v[100:103]// 000000003A4C: D3F30064 1D926D76
	v_mfma_f32_16x16x32_fp8_fp8 v[128:131], a[120:121], a[48:49], v[128:131]// 000000003A54: D3F30080 1E026178
	v_mfma_f32_16x16x32_fp8_fp8 v[128:131], a[122:123], a[50:51], v[128:131]// 000000003A5C: D3F30080 1E02657A
	v_mfma_f32_16x16x32_fp8_fp8 v[128:131], a[124:125], a[52:53], v[128:131]// 000000003A64: D3F30080 1E02697C
	v_mfma_f32_16x16x32_fp8_fp8 v[128:131], a[126:127], a[54:55], v[128:131]// 000000003A6C: D3F30080 1E026D7E
	s_waitcnt vmcnt(18)                                        // 000000003A74: BF8C4F72
	s_barrier                                                  // 000000003A78: BF8A0000
	v_mfma_f32_16x16x32_fp8_fp8 v[132:135], a[128:129], a[0:1], v[132:135]// 000000003A7C: D3F30084 1E120180
	v_mfma_f32_16x16x32_fp8_fp8 v[132:135], a[130:131], a[2:3], v[132:135]// 000000003A84: D3F30084 1E120582
	buffer_load_dwordx4 a[112:115], v72, s[84:87], 0 offen     // 000000003A8C: E05C1000 80957048
	v_mfma_f32_16x16x32_fp8_fp8 v[132:135], a[132:133], a[4:5], v[132:135]// 000000003A94: D3F30084 1E120984
	v_mfma_f32_16x16x32_fp8_fp8 v[132:135], a[134:135], a[6:7], v[132:135]// 000000003A9C: D3F30084 1E120D86
	ds_read_b128 a[56:59], v2 offset:14464                     // 000000003AA4: DBFE3880 38000002
	ds_read_b128 a[60:63], v2 offset:14528                     // 000000003AAC: DBFE38C0 3C000002
	v_mfma_f32_16x16x32_fp8_fp8 v[160:163], a[136:137], a[0:1], v[160:163]// 000000003AB4: D3F300A0 1E820188
	v_mfma_f32_16x16x32_fp8_fp8 v[160:163], a[138:139], a[2:3], v[160:163]// 000000003ABC: D3F300A0 1E82058A
	buffer_load_dwordx4 a[116:119], v72, s[84:87], 0 offen offset:1024// 000000003AC4: E05C1400 80957448
	v_mfma_f32_16x16x32_fp8_fp8 v[160:163], a[140:141], a[4:5], v[160:163]// 000000003ACC: D3F300A0 1E82098C
	v_mfma_f32_16x16x32_fp8_fp8 v[160:163], a[142:143], a[6:7], v[160:163]// 000000003AD4: D3F300A0 1E820D8E
	ds_read_b128 a[64:67], v2 offset:14976                     // 000000003ADC: DBFE3A80 40000002
	ds_read_b128 a[68:71], v2 offset:15040                     // 000000003AE4: DBFE3AC0 44000002
	v_mfma_f32_16x16x32_fp8_fp8 v[136:139], a[128:129], a[8:9], v[136:139]// 000000003AEC: D3F30088 1E221180
	v_mfma_f32_16x16x32_fp8_fp8 v[136:139], a[130:131], a[10:11], v[136:139]// 000000003AF4: D3F30088 1E221582
	buffer_load_dwordx4 a[120:123], v73, s[84:87], 0 offen     // 000000003AFC: E05C1000 80957849
	v_mfma_f32_16x16x32_fp8_fp8 v[136:139], a[132:133], a[12:13], v[136:139]// 000000003B04: D3F30088 1E221984
	v_mfma_f32_16x16x32_fp8_fp8 v[136:139], a[134:135], a[14:15], v[136:139]// 000000003B0C: D3F30088 1E221D86
	ds_read_b128 a[72:75], v2 offset:15488                     // 000000003B14: DBFE3C80 48000002
	ds_read_b128 a[76:79], v2 offset:15552                     // 000000003B1C: DBFE3CC0 4C000002
	v_mfma_f32_16x16x32_fp8_fp8 v[164:167], a[136:137], a[8:9], v[164:167]// 000000003B24: D3F300A4 1E921188
	v_mfma_f32_16x16x32_fp8_fp8 v[164:167], a[138:139], a[10:11], v[164:167]// 000000003B2C: D3F300A4 1E92158A
	buffer_load_dwordx4 a[124:127], v73, s[84:87], 0 offen offset:1024// 000000003B34: E05C1400 80957C49
	v_mfma_f32_16x16x32_fp8_fp8 v[164:167], a[140:141], a[12:13], v[164:167]// 000000003B3C: D3F300A4 1E92198C
	v_mfma_f32_16x16x32_fp8_fp8 v[164:167], a[142:143], a[14:15], v[164:167]// 000000003B44: D3F300A4 1E921D8E
	ds_read_b128 a[80:83], v2 offset:16000                     // 000000003B4C: DBFE3E80 50000002
	ds_read_b128 a[84:87], v2 offset:16064                     // 000000003B54: DBFE3EC0 54000002
	v_mfma_f32_16x16x32_fp8_fp8 v[140:143], a[128:129], a[16:17], v[140:143]// 000000003B5C: D3F3008C 1E322180
	v_mfma_f32_16x16x32_fp8_fp8 v[140:143], a[130:131], a[18:19], v[140:143]// 000000003B64: D3F3008C 1E322582
	v_mfma_f32_16x16x32_fp8_fp8 v[140:143], a[132:133], a[20:21], v[140:143]// 000000003B6C: D3F3008C 1E322984
	v_mfma_f32_16x16x32_fp8_fp8 v[140:143], a[134:135], a[22:23], v[140:143]// 000000003B74: D3F3008C 1E322D86
	ds_read_b128 a[88:91], v2 offset:16512                     // 000000003B7C: DBFE4080 58000002
	ds_read_b128 a[92:95], v2 offset:16576                     // 000000003B84: DBFE40C0 5C000002
	v_mfma_f32_16x16x32_fp8_fp8 v[168:171], a[136:137], a[16:17], v[168:171]// 000000003B8C: D3F300A8 1EA22188
	v_mfma_f32_16x16x32_fp8_fp8 v[168:171], a[138:139], a[18:19], v[168:171]// 000000003B94: D3F300A8 1EA2258A
	v_mfma_f32_16x16x32_fp8_fp8 v[168:171], a[140:141], a[20:21], v[168:171]// 000000003B9C: D3F300A8 1EA2298C
	v_mfma_f32_16x16x32_fp8_fp8 v[168:171], a[142:143], a[22:23], v[168:171]// 000000003BA4: D3F300A8 1EA22D8E
	ds_read_b128 a[96:99], v2 offset:17024                     // 000000003BAC: DBFE4280 60000002
	ds_read_b128 a[100:103], v2 offset:17088                   // 000000003BB4: DBFE42C0 64000002
	v_mfma_f32_16x16x32_fp8_fp8 v[144:147], a[128:129], a[24:25], v[144:147]// 000000003BBC: D3F30090 1E423180
	v_mfma_f32_16x16x32_fp8_fp8 v[144:147], a[130:131], a[26:27], v[144:147]// 000000003BC4: D3F30090 1E423582
	v_mfma_f32_16x16x32_fp8_fp8 v[144:147], a[132:133], a[28:29], v[144:147]// 000000003BCC: D3F30090 1E423984
	v_mfma_f32_16x16x32_fp8_fp8 v[144:147], a[134:135], a[30:31], v[144:147]// 000000003BD4: D3F30090 1E423D86
	ds_read_b128 a[104:107], v2 offset:17536                   // 000000003BDC: DBFE4480 68000002
	ds_read_b128 a[108:111], v2 offset:17600                   // 000000003BE4: DBFE44C0 6C000002
	v_mfma_f32_16x16x32_fp8_fp8 v[172:175], a[136:137], a[24:25], v[172:175]// 000000003BEC: D3F300AC 1EB23188
	v_mfma_f32_16x16x32_fp8_fp8 v[172:175], a[138:139], a[26:27], v[172:175]// 000000003BF4: D3F300AC 1EB2358A
	v_mfma_f32_16x16x32_fp8_fp8 v[172:175], a[140:141], a[28:29], v[172:175]// 000000003BFC: D3F300AC 1EB2398C
	v_mfma_f32_16x16x32_fp8_fp8 v[172:175], a[142:143], a[30:31], v[172:175]// 000000003C04: D3F300AC 1EB23D8E
	v_mfma_f32_16x16x32_fp8_fp8 v[148:151], a[128:129], a[32:33], v[148:151]// 000000003C0C: D3F30094 1E524180
	v_mfma_f32_16x16x32_fp8_fp8 v[148:151], a[130:131], a[34:35], v[148:151]// 000000003C14: D3F30094 1E524582
	v_mfma_f32_16x16x32_fp8_fp8 v[148:151], a[132:133], a[36:37], v[148:151]// 000000003C1C: D3F30094 1E524984
	v_mfma_f32_16x16x32_fp8_fp8 v[148:151], a[134:135], a[38:39], v[148:151]// 000000003C24: D3F30094 1E524D86
	v_mfma_f32_16x16x32_fp8_fp8 v[176:179], a[136:137], a[32:33], v[176:179]// 000000003C2C: D3F300B0 1EC24188
	v_mfma_f32_16x16x32_fp8_fp8 v[176:179], a[138:139], a[34:35], v[176:179]// 000000003C34: D3F300B0 1EC2458A
	v_mfma_f32_16x16x32_fp8_fp8 v[176:179], a[140:141], a[36:37], v[176:179]// 000000003C3C: D3F300B0 1EC2498C
	v_mfma_f32_16x16x32_fp8_fp8 v[176:179], a[142:143], a[38:39], v[176:179]// 000000003C44: D3F300B0 1EC24D8E
	v_mfma_f32_16x16x32_fp8_fp8 v[152:155], a[128:129], a[40:41], v[152:155]// 000000003C4C: D3F30098 1E625180
	v_mfma_f32_16x16x32_fp8_fp8 v[152:155], a[130:131], a[42:43], v[152:155]// 000000003C54: D3F30098 1E625582
	v_mfma_f32_16x16x32_fp8_fp8 v[152:155], a[132:133], a[44:45], v[152:155]// 000000003C5C: D3F30098 1E625984
	v_mfma_f32_16x16x32_fp8_fp8 v[152:155], a[134:135], a[46:47], v[152:155]// 000000003C64: D3F30098 1E625D86
	v_mfma_f32_16x16x32_fp8_fp8 v[180:183], a[136:137], a[40:41], v[180:183]// 000000003C6C: D3F300B4 1ED25188
	v_mfma_f32_16x16x32_fp8_fp8 v[180:183], a[138:139], a[42:43], v[180:183]// 000000003C74: D3F300B4 1ED2558A
	v_mfma_f32_16x16x32_fp8_fp8 v[180:183], a[140:141], a[44:45], v[180:183]// 000000003C7C: D3F300B4 1ED2598C
	v_mfma_f32_16x16x32_fp8_fp8 v[180:183], a[142:143], a[46:47], v[180:183]// 000000003C84: D3F300B4 1ED25D8E
	v_mfma_f32_16x16x32_fp8_fp8 v[156:159], a[128:129], a[48:49], v[156:159]// 000000003C8C: D3F3009C 1E726180
	s_add_u32 s60, 0x180, s80                                  // 000000003C94: 803C50FF 00000180
	s_cmp_lt_u32 s60, s81                                      // 000000003C9C: BF0A513C
	s_cselect_b32 s57, s57, 0                                  // 000000003CA0: 85398039
	v_mfma_f32_16x16x32_fp8_fp8 v[156:159], a[130:131], a[50:51], v[156:159]// 000000003CA4: D3F3009C 1E726582
	s_add_u32 s60, 0x100, s80                                  // 000000003CAC: 803C50FF 00000100
	s_cmp_lt_u32 s60, s81                                      // 000000003CB4: BF0A513C
	s_cselect_b32 s58, s58, 0                                  // 000000003CB8: 853A803A
	v_mfma_f32_16x16x32_fp8_fp8 v[156:159], a[132:133], a[52:53], v[156:159]// 000000003CBC: D3F3009C 1E726984
	s_add_u32 s60, 0x100, s80                                  // 000000003CC4: 803C50FF 00000100
	s_cmp_lt_u32 s60, s81                                      // 000000003CCC: BF0A513C
	s_cselect_b32 s83, s83, 0                                  // 000000003CD0: 85538053
	v_mfma_f32_16x16x32_fp8_fp8 v[156:159], a[134:135], a[54:55], v[156:159]// 000000003CD4: D3F3009C 1E726D86
	s_add_u32 s24, s58, s24                                    // 000000003CDC: 8018183A
	s_addc_u32 s25, 0, s25                                     // 000000003CE0: 82191980
	v_mfma_f32_16x16x32_fp8_fp8 v[184:187], a[136:137], a[48:49], v[184:187]// 000000003CE4: D3F300B8 1EE26188
	s_add_u32 s20, s57, s20                                    // 000000003CEC: 80141439
	s_addc_u32 s21, 0, s21                                     // 000000003CF0: 82151580
	v_mfma_f32_16x16x32_fp8_fp8 v[184:187], a[138:139], a[50:51], v[184:187]// 000000003CF4: D3F300B8 1EE2658A
	s_add_u32 s84, s83, s84                                    // 000000003CFC: 80545453
	s_addc_u32 s85, 0, s85                                     // 000000003D00: 82555580
	v_mfma_f32_16x16x32_fp8_fp8 v[184:187], a[140:141], a[52:53], v[184:187]// 000000003D04: D3F300B8 1EE2698C
	v_mfma_f32_16x16x32_fp8_fp8 v[184:187], a[142:143], a[54:55], v[184:187]// 000000003D0C: D3F300B8 1EE26D8E
	s_addk_i32 s80, 0x80                                       // 000000003D14: B7500080
	s_cmp_lt_i32 s80, s81                                      // 000000003D18: BF045150
	s_cbranch_scc0 label_0B90                                  // 000000003D1C: BF8406C8
	s_waitcnt vmcnt(18) lgkmcnt(0)                             // 000000003D20: BF8C4072
	v_mfma_f32_16x16x32_fp8_fp8 v[76:79], a[144:145], a[56:57], v[76:79]// 000000003D24: D3F3004C 1D327190
	v_mfma_f32_16x16x32_fp8_fp8 v[76:79], a[146:147], a[58:59], v[76:79]// 000000003D2C: D3F3004C 1D327592
	buffer_load_dwordx4 a[128:131], v72, s[24:27], 0 offen     // 000000003D34: E05C1000 80868048
	v_mfma_f32_16x16x32_fp8_fp8 v[76:79], a[148:149], a[60:61], v[76:79]// 000000003D3C: D3F3004C 1D327994
	v_mfma_f32_16x16x32_fp8_fp8 v[76:79], a[150:151], a[62:63], v[76:79]// 000000003D44: D3F3004C 1D327D96
	v_mfma_f32_16x16x32_fp8_fp8 v[104:107], a[152:153], a[56:57], v[104:107]// 000000003D4C: D3F30068 1DA27198
	v_mfma_f32_16x16x32_fp8_fp8 v[104:107], a[154:155], a[58:59], v[104:107]// 000000003D54: D3F30068 1DA2759A
	buffer_load_dwordx4 a[132:135], v72, s[24:27], 0 offen offset:1024// 000000003D5C: E05C1400 80868448
	v_mfma_f32_16x16x32_fp8_fp8 v[104:107], a[156:157], a[60:61], v[104:107]// 000000003D64: D3F30068 1DA2799C
	v_mfma_f32_16x16x32_fp8_fp8 v[104:107], a[158:159], a[62:63], v[104:107]// 000000003D6C: D3F30068 1DA27D9E
	v_mfma_f32_16x16x32_fp8_fp8 v[80:83], a[144:145], a[64:65], v[80:83]// 000000003D74: D3F30050 1D428190
	v_mfma_f32_16x16x32_fp8_fp8 v[80:83], a[146:147], a[66:67], v[80:83]// 000000003D7C: D3F30050 1D428592
	buffer_load_dwordx4 a[136:139], v73, s[24:27], 0 offen     // 000000003D84: E05C1000 80868849
	v_mfma_f32_16x16x32_fp8_fp8 v[80:83], a[148:149], a[68:69], v[80:83]// 000000003D8C: D3F30050 1D428994
	v_mfma_f32_16x16x32_fp8_fp8 v[80:83], a[150:151], a[70:71], v[80:83]// 000000003D94: D3F30050 1D428D96
	v_mfma_f32_16x16x32_fp8_fp8 v[108:111], a[152:153], a[64:65], v[108:111]// 000000003D9C: D3F3006C 1DB28198
	v_mfma_f32_16x16x32_fp8_fp8 v[108:111], a[154:155], a[66:67], v[108:111]// 000000003DA4: D3F3006C 1DB2859A
	buffer_load_dwordx4 a[140:143], v73, s[24:27], 0 offen offset:1024// 000000003DAC: E05C1400 80868C49
	buffer_load_dword v58, s[20:23], 0 offen lds               // 000000003DB4: E0511000 8005003A
	s_add_u32 m0, 0x100, s48                                   // 000000003DBC: 807C30FF 00000100
	v_mfma_f32_16x16x32_fp8_fp8 v[108:111], a[156:157], a[68:69], v[108:111]// 000000003DC4: D3F3006C 1DB2899C
	v_mfma_f32_16x16x32_fp8_fp8 v[108:111], a[158:159], a[70:71], v[108:111]// 000000003DCC: D3F3006C 1DB28D9E
	buffer_load_dword v59, s[20:23], 0 offen lds               // 000000003DD4: E0511000 8005003B
	s_add_u32 m0, 0x200, s48                                   // 000000003DDC: 807C30FF 00000200
	v_mfma_f32_16x16x32_fp8_fp8 v[84:87], a[144:145], a[72:73], v[84:87]// 000000003DE4: D3F30054 1D529190
	v_mfma_f32_16x16x32_fp8_fp8 v[84:87], a[146:147], a[74:75], v[84:87]// 000000003DEC: D3F30054 1D529592
	buffer_load_dword v60, s[20:23], 0 offen lds               // 000000003DF4: E0511000 8005003C
	s_add_u32 m0, 0x300, s48                                   // 000000003DFC: 807C30FF 00000300
	v_mfma_f32_16x16x32_fp8_fp8 v[84:87], a[148:149], a[76:77], v[84:87]// 000000003E04: D3F30054 1D529994
	v_mfma_f32_16x16x32_fp8_fp8 v[84:87], a[150:151], a[78:79], v[84:87]// 000000003E0C: D3F30054 1D529D96
	buffer_load_dword v61, s[20:23], 0 offen lds               // 000000003E14: E0511000 8005003D
	s_add_u32 m0, 0x400, s48                                   // 000000003E1C: 807C30FF 00000400
	v_mfma_f32_16x16x32_fp8_fp8 v[112:115], a[152:153], a[72:73], v[112:115]// 000000003E24: D3F30070 1DC29198
	v_mfma_f32_16x16x32_fp8_fp8 v[112:115], a[154:155], a[74:75], v[112:115]// 000000003E2C: D3F30070 1DC2959A
	buffer_load_dword v62, s[20:23], 0 offen lds               // 000000003E34: E0511000 8005003E
	s_add_u32 m0, 0x500, s48                                   // 000000003E3C: 807C30FF 00000500
	v_mfma_f32_16x16x32_fp8_fp8 v[112:115], a[156:157], a[76:77], v[112:115]// 000000003E44: D3F30070 1DC2999C
	v_mfma_f32_16x16x32_fp8_fp8 v[112:115], a[158:159], a[78:79], v[112:115]// 000000003E4C: D3F30070 1DC29D9E
	buffer_load_dword v63, s[20:23], 0 offen lds               // 000000003E54: E0511000 8005003F
	s_add_u32 m0, 0x600, s48                                   // 000000003E5C: 807C30FF 00000600
	v_mfma_f32_16x16x32_fp8_fp8 v[88:91], a[144:145], a[80:81], v[88:91]// 000000003E64: D3F30058 1D62A190
	v_mfma_f32_16x16x32_fp8_fp8 v[88:91], a[146:147], a[82:83], v[88:91]// 000000003E6C: D3F30058 1D62A592
	buffer_load_dword v64, s[20:23], 0 offen lds               // 000000003E74: E0511000 80050040
	s_add_u32 m0, 0x700, s48                                   // 000000003E7C: 807C30FF 00000700
	v_mfma_f32_16x16x32_fp8_fp8 v[88:91], a[148:149], a[84:85], v[88:91]// 000000003E84: D3F30058 1D62A994
	v_mfma_f32_16x16x32_fp8_fp8 v[88:91], a[150:151], a[86:87], v[88:91]// 000000003E8C: D3F30058 1D62AD96
	buffer_load_dword v65, s[20:23], 0 offen lds               // 000000003E94: E0511000 80050041
	s_add_u32 m0, 0x800, s48                                   // 000000003E9C: 807C30FF 00000800
	v_mfma_f32_16x16x32_fp8_fp8 v[116:119], a[152:153], a[80:81], v[116:119]// 000000003EA4: D3F30074 1DD2A198
	v_mfma_f32_16x16x32_fp8_fp8 v[116:119], a[154:155], a[82:83], v[116:119]// 000000003EAC: D3F30074 1DD2A59A
	buffer_load_dword v66, s[20:23], 0 offen lds               // 000000003EB4: E0511000 80050042
	s_add_u32 m0, 0x900, s48                                   // 000000003EBC: 807C30FF 00000900
	v_mfma_f32_16x16x32_fp8_fp8 v[116:119], a[156:157], a[84:85], v[116:119]// 000000003EC4: D3F30074 1DD2A99C
	v_mfma_f32_16x16x32_fp8_fp8 v[116:119], a[158:159], a[86:87], v[116:119]// 000000003ECC: D3F30074 1DD2AD9E
	buffer_load_dword v67, s[20:23], 0 offen lds               // 000000003ED4: E0511000 80050043
	s_add_u32 m0, 0xa00, s48                                   // 000000003EDC: 807C30FF 00000A00
	v_mfma_f32_16x16x32_fp8_fp8 v[92:95], a[144:145], a[88:89], v[92:95]// 000000003EE4: D3F3005C 1D72B190
	v_mfma_f32_16x16x32_fp8_fp8 v[92:95], a[146:147], a[90:91], v[92:95]// 000000003EEC: D3F3005C 1D72B592
	buffer_load_dword v68, s[20:23], 0 offen lds               // 000000003EF4: E0511000 80050044
	s_add_u32 m0, 0xb00, s48                                   // 000000003EFC: 807C30FF 00000B00
	v_mfma_f32_16x16x32_fp8_fp8 v[92:95], a[148:149], a[92:93], v[92:95]// 000000003F04: D3F3005C 1D72B994
	v_mfma_f32_16x16x32_fp8_fp8 v[92:95], a[150:151], a[94:95], v[92:95]// 000000003F0C: D3F3005C 1D72BD96
	buffer_load_dword v69, s[20:23], 0 offen lds               // 000000003F14: E0511000 80050045
	s_add_u32 m0, 0xc00, s48                                   // 000000003F1C: 807C30FF 00000C00
	v_mfma_f32_16x16x32_fp8_fp8 v[120:123], a[152:153], a[88:89], v[120:123]// 000000003F24: D3F30078 1DE2B198
	v_mfma_f32_16x16x32_fp8_fp8 v[120:123], a[154:155], a[90:91], v[120:123]// 000000003F2C: D3F30078 1DE2B59A
	buffer_load_dword v70, s[20:23], 0 offen lds               // 000000003F34: E0511000 80050046
	s_add_u32 m0, 0xd00, s48                                   // 000000003F3C: 807C30FF 00000D00
	v_mfma_f32_16x16x32_fp8_fp8 v[120:123], a[156:157], a[92:93], v[120:123]// 000000003F44: D3F30078 1DE2B99C
	v_mfma_f32_16x16x32_fp8_fp8 v[120:123], a[158:159], a[94:95], v[120:123]// 000000003F4C: D3F30078 1DE2BD9E
	buffer_load_dword v71, s[20:23], 0 offen lds               // 000000003F54: E0511000 80050047
	s_add_u32 m0, 0, s49                                       // 000000003F5C: 807C3180
	v_mfma_f32_16x16x32_fp8_fp8 v[96:99], a[144:145], a[96:97], v[96:99]// 000000003F60: D3F30060 1D82C190
	v_mfma_f32_16x16x32_fp8_fp8 v[96:99], a[146:147], a[98:99], v[96:99]// 000000003F68: D3F30060 1D82C592
	v_mfma_f32_16x16x32_fp8_fp8 v[96:99], a[148:149], a[100:101], v[96:99]// 000000003F70: D3F30060 1D82C994
	v_mfma_f32_16x16x32_fp8_fp8 v[96:99], a[150:151], a[102:103], v[96:99]// 000000003F78: D3F30060 1D82CD96
	v_mfma_f32_16x16x32_fp8_fp8 v[124:127], a[152:153], a[96:97], v[124:127]// 000000003F80: D3F3007C 1DF2C198
	v_mfma_f32_16x16x32_fp8_fp8 v[124:127], a[154:155], a[98:99], v[124:127]// 000000003F88: D3F3007C 1DF2C59A
	v_mfma_f32_16x16x32_fp8_fp8 v[124:127], a[156:157], a[100:101], v[124:127]// 000000003F90: D3F3007C 1DF2C99C
	v_mfma_f32_16x16x32_fp8_fp8 v[124:127], a[158:159], a[102:103], v[124:127]// 000000003F98: D3F3007C 1DF2CD9E
	v_mfma_f32_16x16x32_fp8_fp8 v[100:103], a[144:145], a[104:105], v[100:103]// 000000003FA0: D3F30064 1D92D190
	v_mfma_f32_16x16x32_fp8_fp8 v[100:103], a[146:147], a[106:107], v[100:103]// 000000003FA8: D3F30064 1D92D592
	v_mfma_f32_16x16x32_fp8_fp8 v[100:103], a[148:149], a[108:109], v[100:103]// 000000003FB0: D3F30064 1D92D994
	v_mfma_f32_16x16x32_fp8_fp8 v[100:103], a[150:151], a[110:111], v[100:103]// 000000003FB8: D3F30064 1D92DD96
	v_mfma_f32_16x16x32_fp8_fp8 v[128:131], a[152:153], a[104:105], v[128:131]// 000000003FC0: D3F30080 1E02D198
	v_mfma_f32_16x16x32_fp8_fp8 v[128:131], a[154:155], a[106:107], v[128:131]// 000000003FC8: D3F30080 1E02D59A
	v_mfma_f32_16x16x32_fp8_fp8 v[128:131], a[156:157], a[108:109], v[128:131]// 000000003FD0: D3F30080 1E02D99C
	v_mfma_f32_16x16x32_fp8_fp8 v[128:131], a[158:159], a[110:111], v[128:131]// 000000003FD8: D3F30080 1E02DD9E
	s_waitcnt vmcnt(18)                                        // 000000003FE0: BF8C4F72
	s_barrier                                                  // 000000003FE4: BF8A0000
	v_mfma_f32_16x16x32_fp8_fp8 v[132:135], a[112:113], a[56:57], v[132:135]// 000000003FE8: D3F30084 1E127170
	v_mfma_f32_16x16x32_fp8_fp8 v[132:135], a[114:115], a[58:59], v[132:135]// 000000003FF0: D3F30084 1E127572
	buffer_load_dwordx4 a[144:147], v72, s[84:87], 0 offen     // 000000003FF8: E05C1000 80959048
	v_mfma_f32_16x16x32_fp8_fp8 v[132:135], a[116:117], a[60:61], v[132:135]// 000000004000: D3F30084 1E127974
	v_mfma_f32_16x16x32_fp8_fp8 v[132:135], a[118:119], a[62:63], v[132:135]// 000000004008: D3F30084 1E127D76
	ds_read_b128 a[0:3], v2 offset:28928                       // 000000004010: DBFE7100 00000002
	ds_read_b128 a[4:7], v2 offset:28992                       // 000000004018: DBFE7140 04000002
	v_mfma_f32_16x16x32_fp8_fp8 v[160:163], a[120:121], a[56:57], v[160:163]// 000000004020: D3F300A0 1E827178
	v_mfma_f32_16x16x32_fp8_fp8 v[160:163], a[122:123], a[58:59], v[160:163]// 000000004028: D3F300A0 1E82757A
	buffer_load_dwordx4 a[148:151], v72, s[84:87], 0 offen offset:1024// 000000004030: E05C1400 80959448
	v_mfma_f32_16x16x32_fp8_fp8 v[160:163], a[124:125], a[60:61], v[160:163]// 000000004038: D3F300A0 1E82797C
	v_mfma_f32_16x16x32_fp8_fp8 v[160:163], a[126:127], a[62:63], v[160:163]// 000000004040: D3F300A0 1E827D7E
	ds_read_b128 a[8:11], v2 offset:29440                      // 000000004048: DBFE7300 08000002
	ds_read_b128 a[12:15], v2 offset:29504                     // 000000004050: DBFE7340 0C000002
	v_mfma_f32_16x16x32_fp8_fp8 v[136:139], a[112:113], a[64:65], v[136:139]// 000000004058: D3F30088 1E228170
	v_mfma_f32_16x16x32_fp8_fp8 v[136:139], a[114:115], a[66:67], v[136:139]// 000000004060: D3F30088 1E228572
	buffer_load_dwordx4 a[152:155], v73, s[84:87], 0 offen     // 000000004068: E05C1000 80959849
	v_mfma_f32_16x16x32_fp8_fp8 v[136:139], a[116:117], a[68:69], v[136:139]// 000000004070: D3F30088 1E228974
	v_mfma_f32_16x16x32_fp8_fp8 v[136:139], a[118:119], a[70:71], v[136:139]// 000000004078: D3F30088 1E228D76
	ds_read_b128 a[16:19], v2 offset:29952                     // 000000004080: DBFE7500 10000002
	ds_read_b128 a[20:23], v2 offset:30016                     // 000000004088: DBFE7540 14000002
	v_mfma_f32_16x16x32_fp8_fp8 v[164:167], a[120:121], a[64:65], v[164:167]// 000000004090: D3F300A4 1E928178
	v_mfma_f32_16x16x32_fp8_fp8 v[164:167], a[122:123], a[66:67], v[164:167]// 000000004098: D3F300A4 1E92857A
	buffer_load_dwordx4 a[156:159], v73, s[84:87], 0 offen offset:1024// 0000000040A0: E05C1400 80959C49
	v_mfma_f32_16x16x32_fp8_fp8 v[164:167], a[124:125], a[68:69], v[164:167]// 0000000040A8: D3F300A4 1E92897C
	v_mfma_f32_16x16x32_fp8_fp8 v[164:167], a[126:127], a[70:71], v[164:167]// 0000000040B0: D3F300A4 1E928D7E
	ds_read_b128 a[24:27], v2 offset:30464                     // 0000000040B8: DBFE7700 18000002
	ds_read_b128 a[28:31], v2 offset:30528                     // 0000000040C0: DBFE7740 1C000002
	v_mfma_f32_16x16x32_fp8_fp8 v[140:143], a[112:113], a[72:73], v[140:143]// 0000000040C8: D3F3008C 1E329170
	v_mfma_f32_16x16x32_fp8_fp8 v[140:143], a[114:115], a[74:75], v[140:143]// 0000000040D0: D3F3008C 1E329572
	v_mfma_f32_16x16x32_fp8_fp8 v[140:143], a[116:117], a[76:77], v[140:143]// 0000000040D8: D3F3008C 1E329974
	v_mfma_f32_16x16x32_fp8_fp8 v[140:143], a[118:119], a[78:79], v[140:143]// 0000000040E0: D3F3008C 1E329D76
	ds_read_b128 a[32:35], v2 offset:30976                     // 0000000040E8: DBFE7900 20000002
	ds_read_b128 a[36:39], v2 offset:31040                     // 0000000040F0: DBFE7940 24000002
	v_mfma_f32_16x16x32_fp8_fp8 v[168:171], a[120:121], a[72:73], v[168:171]// 0000000040F8: D3F300A8 1EA29178
	v_mfma_f32_16x16x32_fp8_fp8 v[168:171], a[122:123], a[74:75], v[168:171]// 000000004100: D3F300A8 1EA2957A
	v_mfma_f32_16x16x32_fp8_fp8 v[168:171], a[124:125], a[76:77], v[168:171]// 000000004108: D3F300A8 1EA2997C
	v_mfma_f32_16x16x32_fp8_fp8 v[168:171], a[126:127], a[78:79], v[168:171]// 000000004110: D3F300A8 1EA29D7E
	ds_read_b128 a[40:43], v2 offset:31488                     // 000000004118: DBFE7B00 28000002
	ds_read_b128 a[44:47], v2 offset:31552                     // 000000004120: DBFE7B40 2C000002
	v_mfma_f32_16x16x32_fp8_fp8 v[144:147], a[112:113], a[80:81], v[144:147]// 000000004128: D3F30090 1E42A170
	v_mfma_f32_16x16x32_fp8_fp8 v[144:147], a[114:115], a[82:83], v[144:147]// 000000004130: D3F30090 1E42A572
	v_mfma_f32_16x16x32_fp8_fp8 v[144:147], a[116:117], a[84:85], v[144:147]// 000000004138: D3F30090 1E42A974
	v_mfma_f32_16x16x32_fp8_fp8 v[144:147], a[118:119], a[86:87], v[144:147]// 000000004140: D3F30090 1E42AD76
	ds_read_b128 a[48:51], v2 offset:32000                     // 000000004148: DBFE7D00 30000002
	ds_read_b128 a[52:55], v2 offset:32064                     // 000000004150: DBFE7D40 34000002
	v_mfma_f32_16x16x32_fp8_fp8 v[172:175], a[120:121], a[80:81], v[172:175]// 000000004158: D3F300AC 1EB2A178
	v_mfma_f32_16x16x32_fp8_fp8 v[172:175], a[122:123], a[82:83], v[172:175]// 000000004160: D3F300AC 1EB2A57A
	v_mfma_f32_16x16x32_fp8_fp8 v[172:175], a[124:125], a[84:85], v[172:175]// 000000004168: D3F300AC 1EB2A97C
	v_mfma_f32_16x16x32_fp8_fp8 v[172:175], a[126:127], a[86:87], v[172:175]// 000000004170: D3F300AC 1EB2AD7E
	v_mfma_f32_16x16x32_fp8_fp8 v[148:151], a[112:113], a[88:89], v[148:151]// 000000004178: D3F30094 1E52B170
	v_mfma_f32_16x16x32_fp8_fp8 v[148:151], a[114:115], a[90:91], v[148:151]// 000000004180: D3F30094 1E52B572
	v_mfma_f32_16x16x32_fp8_fp8 v[148:151], a[116:117], a[92:93], v[148:151]// 000000004188: D3F30094 1E52B974
	v_mfma_f32_16x16x32_fp8_fp8 v[148:151], a[118:119], a[94:95], v[148:151]// 000000004190: D3F30094 1E52BD76
	v_mfma_f32_16x16x32_fp8_fp8 v[176:179], a[120:121], a[88:89], v[176:179]// 000000004198: D3F300B0 1EC2B178
	v_mfma_f32_16x16x32_fp8_fp8 v[176:179], a[122:123], a[90:91], v[176:179]// 0000000041A0: D3F300B0 1EC2B57A
	v_mfma_f32_16x16x32_fp8_fp8 v[176:179], a[124:125], a[92:93], v[176:179]// 0000000041A8: D3F300B0 1EC2B97C
	v_mfma_f32_16x16x32_fp8_fp8 v[176:179], a[126:127], a[94:95], v[176:179]// 0000000041B0: D3F300B0 1EC2BD7E
	v_mfma_f32_16x16x32_fp8_fp8 v[152:155], a[112:113], a[96:97], v[152:155]// 0000000041B8: D3F30098 1E62C170
	v_mfma_f32_16x16x32_fp8_fp8 v[152:155], a[114:115], a[98:99], v[152:155]// 0000000041C0: D3F30098 1E62C572
	v_mfma_f32_16x16x32_fp8_fp8 v[152:155], a[116:117], a[100:101], v[152:155]// 0000000041C8: D3F30098 1E62C974
	v_mfma_f32_16x16x32_fp8_fp8 v[152:155], a[118:119], a[102:103], v[152:155]// 0000000041D0: D3F30098 1E62CD76
	v_mfma_f32_16x16x32_fp8_fp8 v[180:183], a[120:121], a[96:97], v[180:183]// 0000000041D8: D3F300B4 1ED2C178
	v_mfma_f32_16x16x32_fp8_fp8 v[180:183], a[122:123], a[98:99], v[180:183]// 0000000041E0: D3F300B4 1ED2C57A
	v_mfma_f32_16x16x32_fp8_fp8 v[180:183], a[124:125], a[100:101], v[180:183]// 0000000041E8: D3F300B4 1ED2C97C
	v_mfma_f32_16x16x32_fp8_fp8 v[180:183], a[126:127], a[102:103], v[180:183]// 0000000041F0: D3F300B4 1ED2CD7E
	v_mfma_f32_16x16x32_fp8_fp8 v[156:159], a[112:113], a[104:105], v[156:159]// 0000000041F8: D3F3009C 1E72D170
	s_add_u32 s60, 0x180, s80                                  // 000000004200: 803C50FF 00000180
	s_cmp_lt_u32 s60, s81                                      // 000000004208: BF0A513C
	s_cselect_b32 s57, s57, 0                                  // 00000000420C: 85398039
	v_mfma_f32_16x16x32_fp8_fp8 v[156:159], a[114:115], a[106:107], v[156:159]// 000000004210: D3F3009C 1E72D572
	s_add_u32 s60, 0x100, s80                                  // 000000004218: 803C50FF 00000100
	s_cmp_lt_u32 s60, s81                                      // 000000004220: BF0A513C
	s_cselect_b32 s58, s58, 0                                  // 000000004224: 853A803A
	v_mfma_f32_16x16x32_fp8_fp8 v[156:159], a[116:117], a[108:109], v[156:159]// 000000004228: D3F3009C 1E72D974
	s_add_u32 s60, 0x100, s80                                  // 000000004230: 803C50FF 00000100
	s_cmp_lt_u32 s60, s81                                      // 000000004238: BF0A513C
	s_cselect_b32 s83, s83, 0                                  // 00000000423C: 85538053
	v_mfma_f32_16x16x32_fp8_fp8 v[156:159], a[118:119], a[110:111], v[156:159]// 000000004240: D3F3009C 1E72DD76
	s_add_u32 s24, s58, s24                                    // 000000004248: 8018183A
	s_addc_u32 s25, 0, s25                                     // 00000000424C: 82191980
	v_mfma_f32_16x16x32_fp8_fp8 v[184:187], a[120:121], a[104:105], v[184:187]// 000000004250: D3F300B8 1EE2D178
	s_add_u32 s20, s57, s20                                    // 000000004258: 80141439
	s_addc_u32 s21, 0, s21                                     // 00000000425C: 82151580
	v_mfma_f32_16x16x32_fp8_fp8 v[184:187], a[122:123], a[106:107], v[184:187]// 000000004260: D3F300B8 1EE2D57A
	s_add_u32 s84, s83, s84                                    // 000000004268: 80545453
	s_addc_u32 s85, 0, s85                                     // 00000000426C: 82555580
	v_mfma_f32_16x16x32_fp8_fp8 v[184:187], a[124:125], a[108:109], v[184:187]// 000000004270: D3F300B8 1EE2D97C
	v_mfma_f32_16x16x32_fp8_fp8 v[184:187], a[126:127], a[110:111], v[184:187]// 000000004278: D3F300B8 1EE2DD7E
	s_addk_i32 s80, 0x80                                       // 000000004280: B7500080
	s_cmp_lt_i32 s80, s81                                      // 000000004284: BF045150
	s_cbranch_scc0 label_0B90                                  // 000000004288: BF84056D
	s_waitcnt vmcnt(18) lgkmcnt(0)                             // 00000000428C: BF8C4072
	v_mfma_f32_16x16x32_fp8_fp8 v[76:79], a[128:129], a[0:1], v[76:79]// 000000004290: D3F3004C 1D320180
	v_mfma_f32_16x16x32_fp8_fp8 v[76:79], a[130:131], a[2:3], v[76:79]// 000000004298: D3F3004C 1D320582
	buffer_load_dwordx4 a[112:115], v72, s[24:27], 0 offen     // 0000000042A0: E05C1000 80867048
	v_mfma_f32_16x16x32_fp8_fp8 v[76:79], a[132:133], a[4:5], v[76:79]// 0000000042A8: D3F3004C 1D320984
	v_mfma_f32_16x16x32_fp8_fp8 v[76:79], a[134:135], a[6:7], v[76:79]// 0000000042B0: D3F3004C 1D320D86
	v_mfma_f32_16x16x32_fp8_fp8 v[104:107], a[136:137], a[0:1], v[104:107]// 0000000042B8: D3F30068 1DA20188
	v_mfma_f32_16x16x32_fp8_fp8 v[104:107], a[138:139], a[2:3], v[104:107]// 0000000042C0: D3F30068 1DA2058A
	buffer_load_dwordx4 a[116:119], v72, s[24:27], 0 offen offset:1024// 0000000042C8: E05C1400 80867448
	v_mfma_f32_16x16x32_fp8_fp8 v[104:107], a[140:141], a[4:5], v[104:107]// 0000000042D0: D3F30068 1DA2098C
	v_mfma_f32_16x16x32_fp8_fp8 v[104:107], a[142:143], a[6:7], v[104:107]// 0000000042D8: D3F30068 1DA20D8E
	v_mfma_f32_16x16x32_fp8_fp8 v[80:83], a[128:129], a[8:9], v[80:83]// 0000000042E0: D3F30050 1D421180
	v_mfma_f32_16x16x32_fp8_fp8 v[80:83], a[130:131], a[10:11], v[80:83]// 0000000042E8: D3F30050 1D421582
	buffer_load_dwordx4 a[120:123], v73, s[24:27], 0 offen     // 0000000042F0: E05C1000 80867849
	v_mfma_f32_16x16x32_fp8_fp8 v[80:83], a[132:133], a[12:13], v[80:83]// 0000000042F8: D3F30050 1D421984
	v_mfma_f32_16x16x32_fp8_fp8 v[80:83], a[134:135], a[14:15], v[80:83]// 000000004300: D3F30050 1D421D86
	v_mfma_f32_16x16x32_fp8_fp8 v[108:111], a[136:137], a[8:9], v[108:111]// 000000004308: D3F3006C 1DB21188
	v_mfma_f32_16x16x32_fp8_fp8 v[108:111], a[138:139], a[10:11], v[108:111]// 000000004310: D3F3006C 1DB2158A
	buffer_load_dwordx4 a[124:127], v73, s[24:27], 0 offen offset:1024// 000000004318: E05C1400 80867C49
	buffer_load_dword v58, s[20:23], 0 offen lds               // 000000004320: E0511000 8005003A
	s_add_u32 m0, 0x100, s49                                   // 000000004328: 807C31FF 00000100
	v_mfma_f32_16x16x32_fp8_fp8 v[108:111], a[140:141], a[12:13], v[108:111]// 000000004330: D3F3006C 1DB2198C
	v_mfma_f32_16x16x32_fp8_fp8 v[108:111], a[142:143], a[14:15], v[108:111]// 000000004338: D3F3006C 1DB21D8E
	buffer_load_dword v59, s[20:23], 0 offen lds               // 000000004340: E0511000 8005003B
	s_add_u32 m0, 0x200, s49                                   // 000000004348: 807C31FF 00000200
	v_mfma_f32_16x16x32_fp8_fp8 v[84:87], a[128:129], a[16:17], v[84:87]// 000000004350: D3F30054 1D522180
	v_mfma_f32_16x16x32_fp8_fp8 v[84:87], a[130:131], a[18:19], v[84:87]// 000000004358: D3F30054 1D522582
	buffer_load_dword v60, s[20:23], 0 offen lds               // 000000004360: E0511000 8005003C
	s_add_u32 m0, 0x300, s49                                   // 000000004368: 807C31FF 00000300
	v_mfma_f32_16x16x32_fp8_fp8 v[84:87], a[132:133], a[20:21], v[84:87]// 000000004370: D3F30054 1D522984
	v_mfma_f32_16x16x32_fp8_fp8 v[84:87], a[134:135], a[22:23], v[84:87]// 000000004378: D3F30054 1D522D86
	buffer_load_dword v61, s[20:23], 0 offen lds               // 000000004380: E0511000 8005003D
	s_add_u32 m0, 0x400, s49                                   // 000000004388: 807C31FF 00000400
	v_mfma_f32_16x16x32_fp8_fp8 v[112:115], a[136:137], a[16:17], v[112:115]// 000000004390: D3F30070 1DC22188
	v_mfma_f32_16x16x32_fp8_fp8 v[112:115], a[138:139], a[18:19], v[112:115]// 000000004398: D3F30070 1DC2258A
	buffer_load_dword v62, s[20:23], 0 offen lds               // 0000000043A0: E0511000 8005003E
	s_add_u32 m0, 0x500, s49                                   // 0000000043A8: 807C31FF 00000500
	v_mfma_f32_16x16x32_fp8_fp8 v[112:115], a[140:141], a[20:21], v[112:115]// 0000000043B0: D3F30070 1DC2298C
	v_mfma_f32_16x16x32_fp8_fp8 v[112:115], a[142:143], a[22:23], v[112:115]// 0000000043B8: D3F30070 1DC22D8E
	buffer_load_dword v63, s[20:23], 0 offen lds               // 0000000043C0: E0511000 8005003F
	s_add_u32 m0, 0x600, s49                                   // 0000000043C8: 807C31FF 00000600
	v_mfma_f32_16x16x32_fp8_fp8 v[88:91], a[128:129], a[24:25], v[88:91]// 0000000043D0: D3F30058 1D623180
	v_mfma_f32_16x16x32_fp8_fp8 v[88:91], a[130:131], a[26:27], v[88:91]// 0000000043D8: D3F30058 1D623582
	buffer_load_dword v64, s[20:23], 0 offen lds               // 0000000043E0: E0511000 80050040
	s_add_u32 m0, 0x700, s49                                   // 0000000043E8: 807C31FF 00000700
	v_mfma_f32_16x16x32_fp8_fp8 v[88:91], a[132:133], a[28:29], v[88:91]// 0000000043F0: D3F30058 1D623984
	v_mfma_f32_16x16x32_fp8_fp8 v[88:91], a[134:135], a[30:31], v[88:91]// 0000000043F8: D3F30058 1D623D86
	buffer_load_dword v65, s[20:23], 0 offen lds               // 000000004400: E0511000 80050041
	s_add_u32 m0, 0x800, s49                                   // 000000004408: 807C31FF 00000800
	v_mfma_f32_16x16x32_fp8_fp8 v[116:119], a[136:137], a[24:25], v[116:119]// 000000004410: D3F30074 1DD23188
	v_mfma_f32_16x16x32_fp8_fp8 v[116:119], a[138:139], a[26:27], v[116:119]// 000000004418: D3F30074 1DD2358A
	buffer_load_dword v66, s[20:23], 0 offen lds               // 000000004420: E0511000 80050042
	s_add_u32 m0, 0x900, s49                                   // 000000004428: 807C31FF 00000900
	v_mfma_f32_16x16x32_fp8_fp8 v[116:119], a[140:141], a[28:29], v[116:119]// 000000004430: D3F30074 1DD2398C
	v_mfma_f32_16x16x32_fp8_fp8 v[116:119], a[142:143], a[30:31], v[116:119]// 000000004438: D3F30074 1DD23D8E
	buffer_load_dword v67, s[20:23], 0 offen lds               // 000000004440: E0511000 80050043
	s_add_u32 m0, 0xa00, s49                                   // 000000004448: 807C31FF 00000A00
	v_mfma_f32_16x16x32_fp8_fp8 v[92:95], a[128:129], a[32:33], v[92:95]// 000000004450: D3F3005C 1D724180
	v_mfma_f32_16x16x32_fp8_fp8 v[92:95], a[130:131], a[34:35], v[92:95]// 000000004458: D3F3005C 1D724582
	buffer_load_dword v68, s[20:23], 0 offen lds               // 000000004460: E0511000 80050044
	s_add_u32 m0, 0xb00, s49                                   // 000000004468: 807C31FF 00000B00
	v_mfma_f32_16x16x32_fp8_fp8 v[92:95], a[132:133], a[36:37], v[92:95]// 000000004470: D3F3005C 1D724984
	v_mfma_f32_16x16x32_fp8_fp8 v[92:95], a[134:135], a[38:39], v[92:95]// 000000004478: D3F3005C 1D724D86
	buffer_load_dword v69, s[20:23], 0 offen lds               // 000000004480: E0511000 80050045
	s_add_u32 m0, 0xc00, s49                                   // 000000004488: 807C31FF 00000C00
	v_mfma_f32_16x16x32_fp8_fp8 v[120:123], a[136:137], a[32:33], v[120:123]// 000000004490: D3F30078 1DE24188
	v_mfma_f32_16x16x32_fp8_fp8 v[120:123], a[138:139], a[34:35], v[120:123]// 000000004498: D3F30078 1DE2458A
	buffer_load_dword v70, s[20:23], 0 offen lds               // 0000000044A0: E0511000 80050046
	s_add_u32 m0, 0xd00, s49                                   // 0000000044A8: 807C31FF 00000D00
	v_mfma_f32_16x16x32_fp8_fp8 v[120:123], a[140:141], a[36:37], v[120:123]// 0000000044B0: D3F30078 1DE2498C
	v_mfma_f32_16x16x32_fp8_fp8 v[120:123], a[142:143], a[38:39], v[120:123]// 0000000044B8: D3F30078 1DE24D8E
	buffer_load_dword v71, s[20:23], 0 offen lds               // 0000000044C0: E0511000 80050047
	s_add_u32 m0, 0, s50                                       // 0000000044C8: 807C3280
	v_mfma_f32_16x16x32_fp8_fp8 v[96:99], a[128:129], a[40:41], v[96:99]// 0000000044CC: D3F30060 1D825180
	v_mfma_f32_16x16x32_fp8_fp8 v[96:99], a[130:131], a[42:43], v[96:99]// 0000000044D4: D3F30060 1D825582
	v_mfma_f32_16x16x32_fp8_fp8 v[96:99], a[132:133], a[44:45], v[96:99]// 0000000044DC: D3F30060 1D825984
	v_mfma_f32_16x16x32_fp8_fp8 v[96:99], a[134:135], a[46:47], v[96:99]// 0000000044E4: D3F30060 1D825D86
	v_mfma_f32_16x16x32_fp8_fp8 v[124:127], a[136:137], a[40:41], v[124:127]// 0000000044EC: D3F3007C 1DF25188
	v_mfma_f32_16x16x32_fp8_fp8 v[124:127], a[138:139], a[42:43], v[124:127]// 0000000044F4: D3F3007C 1DF2558A
	v_mfma_f32_16x16x32_fp8_fp8 v[124:127], a[140:141], a[44:45], v[124:127]// 0000000044FC: D3F3007C 1DF2598C
	v_mfma_f32_16x16x32_fp8_fp8 v[124:127], a[142:143], a[46:47], v[124:127]// 000000004504: D3F3007C 1DF25D8E
	v_mfma_f32_16x16x32_fp8_fp8 v[100:103], a[128:129], a[48:49], v[100:103]// 00000000450C: D3F30064 1D926180
	v_mfma_f32_16x16x32_fp8_fp8 v[100:103], a[130:131], a[50:51], v[100:103]// 000000004514: D3F30064 1D926582
	v_mfma_f32_16x16x32_fp8_fp8 v[100:103], a[132:133], a[52:53], v[100:103]// 00000000451C: D3F30064 1D926984
	v_mfma_f32_16x16x32_fp8_fp8 v[100:103], a[134:135], a[54:55], v[100:103]// 000000004524: D3F30064 1D926D86
	v_mfma_f32_16x16x32_fp8_fp8 v[128:131], a[136:137], a[48:49], v[128:131]// 00000000452C: D3F30080 1E026188
	v_mfma_f32_16x16x32_fp8_fp8 v[128:131], a[138:139], a[50:51], v[128:131]// 000000004534: D3F30080 1E02658A
	v_mfma_f32_16x16x32_fp8_fp8 v[128:131], a[140:141], a[52:53], v[128:131]// 00000000453C: D3F30080 1E02698C
	v_mfma_f32_16x16x32_fp8_fp8 v[128:131], a[142:143], a[54:55], v[128:131]// 000000004544: D3F30080 1E026D8E
	s_waitcnt vmcnt(18)                                        // 00000000454C: BF8C4F72
	s_barrier                                                  // 000000004550: BF8A0000
	v_mfma_f32_16x16x32_fp8_fp8 v[132:135], a[144:145], a[0:1], v[132:135]// 000000004554: D3F30084 1E120190
	v_mfma_f32_16x16x32_fp8_fp8 v[132:135], a[146:147], a[2:3], v[132:135]// 00000000455C: D3F30084 1E120592
	buffer_load_dwordx4 a[128:131], v72, s[84:87], 0 offen     // 000000004564: E05C1000 80958048
	v_mfma_f32_16x16x32_fp8_fp8 v[132:135], a[148:149], a[4:5], v[132:135]// 00000000456C: D3F30084 1E120994
	v_mfma_f32_16x16x32_fp8_fp8 v[132:135], a[150:151], a[6:7], v[132:135]// 000000004574: D3F30084 1E120D96
	ds_read_b128 a[56:59], v2                                  // 00000000457C: DBFE0000 38000002
	ds_read_b128 a[60:63], v2 offset:64                        // 000000004584: DBFE0040 3C000002
	v_mfma_f32_16x16x32_fp8_fp8 v[160:163], a[152:153], a[0:1], v[160:163]// 00000000458C: D3F300A0 1E820198
	v_mfma_f32_16x16x32_fp8_fp8 v[160:163], a[154:155], a[2:3], v[160:163]// 000000004594: D3F300A0 1E82059A
	buffer_load_dwordx4 a[132:135], v72, s[84:87], 0 offen offset:1024// 00000000459C: E05C1400 80958448
	v_mfma_f32_16x16x32_fp8_fp8 v[160:163], a[156:157], a[4:5], v[160:163]// 0000000045A4: D3F300A0 1E82099C
	v_mfma_f32_16x16x32_fp8_fp8 v[160:163], a[158:159], a[6:7], v[160:163]// 0000000045AC: D3F300A0 1E820D9E
	ds_read_b128 a[64:67], v2 offset:512                       // 0000000045B4: DBFE0200 40000002
	ds_read_b128 a[68:71], v2 offset:576                       // 0000000045BC: DBFE0240 44000002
	v_mfma_f32_16x16x32_fp8_fp8 v[136:139], a[144:145], a[8:9], v[136:139]// 0000000045C4: D3F30088 1E221190
	v_mfma_f32_16x16x32_fp8_fp8 v[136:139], a[146:147], a[10:11], v[136:139]// 0000000045CC: D3F30088 1E221592
	buffer_load_dwordx4 a[136:139], v73, s[84:87], 0 offen     // 0000000045D4: E05C1000 80958849
	v_mfma_f32_16x16x32_fp8_fp8 v[136:139], a[148:149], a[12:13], v[136:139]// 0000000045DC: D3F30088 1E221994
	v_mfma_f32_16x16x32_fp8_fp8 v[136:139], a[150:151], a[14:15], v[136:139]// 0000000045E4: D3F30088 1E221D96
	ds_read_b128 a[72:75], v2 offset:1024                      // 0000000045EC: DBFE0400 48000002
	ds_read_b128 a[76:79], v2 offset:1088                      // 0000000045F4: DBFE0440 4C000002
	v_mfma_f32_16x16x32_fp8_fp8 v[164:167], a[152:153], a[8:9], v[164:167]// 0000000045FC: D3F300A4 1E921198
	v_mfma_f32_16x16x32_fp8_fp8 v[164:167], a[154:155], a[10:11], v[164:167]// 000000004604: D3F300A4 1E92159A
	buffer_load_dwordx4 a[140:143], v73, s[84:87], 0 offen offset:1024// 00000000460C: E05C1400 80958C49
	v_mfma_f32_16x16x32_fp8_fp8 v[164:167], a[156:157], a[12:13], v[164:167]// 000000004614: D3F300A4 1E92199C
	v_mfma_f32_16x16x32_fp8_fp8 v[164:167], a[158:159], a[14:15], v[164:167]// 00000000461C: D3F300A4 1E921D9E
	ds_read_b128 a[80:83], v2 offset:1536                      // 000000004624: DBFE0600 50000002
	ds_read_b128 a[84:87], v2 offset:1600                      // 00000000462C: DBFE0640 54000002
	v_mfma_f32_16x16x32_fp8_fp8 v[140:143], a[144:145], a[16:17], v[140:143]// 000000004634: D3F3008C 1E322190
	v_mfma_f32_16x16x32_fp8_fp8 v[140:143], a[146:147], a[18:19], v[140:143]// 00000000463C: D3F3008C 1E322592
	v_mfma_f32_16x16x32_fp8_fp8 v[140:143], a[148:149], a[20:21], v[140:143]// 000000004644: D3F3008C 1E322994
	v_mfma_f32_16x16x32_fp8_fp8 v[140:143], a[150:151], a[22:23], v[140:143]// 00000000464C: D3F3008C 1E322D96
	ds_read_b128 a[88:91], v2 offset:2048                      // 000000004654: DBFE0800 58000002
	ds_read_b128 a[92:95], v2 offset:2112                      // 00000000465C: DBFE0840 5C000002
	v_mfma_f32_16x16x32_fp8_fp8 v[168:171], a[152:153], a[16:17], v[168:171]// 000000004664: D3F300A8 1EA22198
	v_mfma_f32_16x16x32_fp8_fp8 v[168:171], a[154:155], a[18:19], v[168:171]// 00000000466C: D3F300A8 1EA2259A
	v_mfma_f32_16x16x32_fp8_fp8 v[168:171], a[156:157], a[20:21], v[168:171]// 000000004674: D3F300A8 1EA2299C
	v_mfma_f32_16x16x32_fp8_fp8 v[168:171], a[158:159], a[22:23], v[168:171]// 00000000467C: D3F300A8 1EA22D9E
	ds_read_b128 a[96:99], v2 offset:2560                      // 000000004684: DBFE0A00 60000002
	ds_read_b128 a[100:103], v2 offset:2624                    // 00000000468C: DBFE0A40 64000002
	v_mfma_f32_16x16x32_fp8_fp8 v[144:147], a[144:145], a[24:25], v[144:147]// 000000004694: D3F30090 1E423190
	v_mfma_f32_16x16x32_fp8_fp8 v[144:147], a[146:147], a[26:27], v[144:147]// 00000000469C: D3F30090 1E423592
	v_mfma_f32_16x16x32_fp8_fp8 v[144:147], a[148:149], a[28:29], v[144:147]// 0000000046A4: D3F30090 1E423994
	v_mfma_f32_16x16x32_fp8_fp8 v[144:147], a[150:151], a[30:31], v[144:147]// 0000000046AC: D3F30090 1E423D96
	ds_read_b128 a[104:107], v2 offset:3072                    // 0000000046B4: DBFE0C00 68000002
	ds_read_b128 a[108:111], v2 offset:3136                    // 0000000046BC: DBFE0C40 6C000002
	v_mfma_f32_16x16x32_fp8_fp8 v[172:175], a[152:153], a[24:25], v[172:175]// 0000000046C4: D3F300AC 1EB23198
	v_mfma_f32_16x16x32_fp8_fp8 v[172:175], a[154:155], a[26:27], v[172:175]// 0000000046CC: D3F300AC 1EB2359A
	v_mfma_f32_16x16x32_fp8_fp8 v[172:175], a[156:157], a[28:29], v[172:175]// 0000000046D4: D3F300AC 1EB2399C
	v_mfma_f32_16x16x32_fp8_fp8 v[172:175], a[158:159], a[30:31], v[172:175]// 0000000046DC: D3F300AC 1EB23D9E
	v_mfma_f32_16x16x32_fp8_fp8 v[148:151], a[144:145], a[32:33], v[148:151]// 0000000046E4: D3F30094 1E524190
	v_mfma_f32_16x16x32_fp8_fp8 v[148:151], a[146:147], a[34:35], v[148:151]// 0000000046EC: D3F30094 1E524592
	v_mfma_f32_16x16x32_fp8_fp8 v[148:151], a[148:149], a[36:37], v[148:151]// 0000000046F4: D3F30094 1E524994
	v_mfma_f32_16x16x32_fp8_fp8 v[148:151], a[150:151], a[38:39], v[148:151]// 0000000046FC: D3F30094 1E524D96
	v_mfma_f32_16x16x32_fp8_fp8 v[176:179], a[152:153], a[32:33], v[176:179]// 000000004704: D3F300B0 1EC24198
	v_mfma_f32_16x16x32_fp8_fp8 v[176:179], a[154:155], a[34:35], v[176:179]// 00000000470C: D3F300B0 1EC2459A
	v_mfma_f32_16x16x32_fp8_fp8 v[176:179], a[156:157], a[36:37], v[176:179]// 000000004714: D3F300B0 1EC2499C
	v_mfma_f32_16x16x32_fp8_fp8 v[176:179], a[158:159], a[38:39], v[176:179]// 00000000471C: D3F300B0 1EC24D9E
	v_mfma_f32_16x16x32_fp8_fp8 v[152:155], a[144:145], a[40:41], v[152:155]// 000000004724: D3F30098 1E625190
	v_mfma_f32_16x16x32_fp8_fp8 v[152:155], a[146:147], a[42:43], v[152:155]// 00000000472C: D3F30098 1E625592
	v_mfma_f32_16x16x32_fp8_fp8 v[152:155], a[148:149], a[44:45], v[152:155]// 000000004734: D3F30098 1E625994
	v_mfma_f32_16x16x32_fp8_fp8 v[152:155], a[150:151], a[46:47], v[152:155]// 00000000473C: D3F30098 1E625D96
	v_mfma_f32_16x16x32_fp8_fp8 v[180:183], a[152:153], a[40:41], v[180:183]// 000000004744: D3F300B4 1ED25198
	v_mfma_f32_16x16x32_fp8_fp8 v[180:183], a[154:155], a[42:43], v[180:183]// 00000000474C: D3F300B4 1ED2559A
	v_mfma_f32_16x16x32_fp8_fp8 v[180:183], a[156:157], a[44:45], v[180:183]// 000000004754: D3F300B4 1ED2599C
	v_mfma_f32_16x16x32_fp8_fp8 v[180:183], a[158:159], a[46:47], v[180:183]// 00000000475C: D3F300B4 1ED25D9E
	v_mfma_f32_16x16x32_fp8_fp8 v[156:159], a[144:145], a[48:49], v[156:159]// 000000004764: D3F3009C 1E726190
	s_add_u32 s60, 0x180, s80                                  // 00000000476C: 803C50FF 00000180
	s_cmp_lt_u32 s60, s81                                      // 000000004774: BF0A513C
	s_cselect_b32 s57, s57, 0                                  // 000000004778: 85398039
	v_mfma_f32_16x16x32_fp8_fp8 v[156:159], a[146:147], a[50:51], v[156:159]// 00000000477C: D3F3009C 1E726592
	s_add_u32 s60, 0x100, s80                                  // 000000004784: 803C50FF 00000100
	s_cmp_lt_u32 s60, s81                                      // 00000000478C: BF0A513C
	s_cselect_b32 s58, s58, 0                                  // 000000004790: 853A803A
	v_mfma_f32_16x16x32_fp8_fp8 v[156:159], a[148:149], a[52:53], v[156:159]// 000000004794: D3F3009C 1E726994
	s_add_u32 s60, 0x100, s80                                  // 00000000479C: 803C50FF 00000100
	s_cmp_lt_u32 s60, s81                                      // 0000000047A4: BF0A513C
	s_cselect_b32 s83, s83, 0                                  // 0000000047A8: 85538053
	v_mfma_f32_16x16x32_fp8_fp8 v[156:159], a[150:151], a[54:55], v[156:159]// 0000000047AC: D3F3009C 1E726D96
	s_add_u32 s24, s58, s24                                    // 0000000047B4: 8018183A
	s_addc_u32 s25, 0, s25                                     // 0000000047B8: 82191980
	v_mfma_f32_16x16x32_fp8_fp8 v[184:187], a[152:153], a[48:49], v[184:187]// 0000000047BC: D3F300B8 1EE26198
	s_add_u32 s20, s57, s20                                    // 0000000047C4: 80141439
	s_addc_u32 s21, 0, s21                                     // 0000000047C8: 82151580
	v_mfma_f32_16x16x32_fp8_fp8 v[184:187], a[154:155], a[50:51], v[184:187]// 0000000047CC: D3F300B8 1EE2659A
	s_add_u32 s84, s83, s84                                    // 0000000047D4: 80545453
	s_addc_u32 s85, 0, s85                                     // 0000000047D8: 82555580
	v_mfma_f32_16x16x32_fp8_fp8 v[184:187], a[156:157], a[52:53], v[184:187]// 0000000047DC: D3F300B8 1EE2699C
	v_mfma_f32_16x16x32_fp8_fp8 v[184:187], a[158:159], a[54:55], v[184:187]// 0000000047E4: D3F300B8 1EE26D9E
	s_addk_i32 s80, 0x80                                       // 0000000047EC: B7500080
	s_cmp_lt_i32 s80, s81                                      // 0000000047F0: BF045150
	s_cbranch_scc0 label_0B90                                  // 0000000047F4: BF840412
	s_waitcnt vmcnt(18) lgkmcnt(0)                             // 0000000047F8: BF8C4072
	v_mfma_f32_16x16x32_fp8_fp8 v[76:79], a[112:113], a[56:57], v[76:79]// 0000000047FC: D3F3004C 1D327170
	v_mfma_f32_16x16x32_fp8_fp8 v[76:79], a[114:115], a[58:59], v[76:79]// 000000004804: D3F3004C 1D327572
	buffer_load_dwordx4 a[144:147], v72, s[24:27], 0 offen     // 00000000480C: E05C1000 80869048
	v_mfma_f32_16x16x32_fp8_fp8 v[76:79], a[116:117], a[60:61], v[76:79]// 000000004814: D3F3004C 1D327974
	v_mfma_f32_16x16x32_fp8_fp8 v[76:79], a[118:119], a[62:63], v[76:79]// 00000000481C: D3F3004C 1D327D76
	v_mfma_f32_16x16x32_fp8_fp8 v[104:107], a[120:121], a[56:57], v[104:107]// 000000004824: D3F30068 1DA27178
	v_mfma_f32_16x16x32_fp8_fp8 v[104:107], a[122:123], a[58:59], v[104:107]// 00000000482C: D3F30068 1DA2757A
	buffer_load_dwordx4 a[148:151], v72, s[24:27], 0 offen offset:1024// 000000004834: E05C1400 80869448
	v_mfma_f32_16x16x32_fp8_fp8 v[104:107], a[124:125], a[60:61], v[104:107]// 00000000483C: D3F30068 1DA2797C
	v_mfma_f32_16x16x32_fp8_fp8 v[104:107], a[126:127], a[62:63], v[104:107]// 000000004844: D3F30068 1DA27D7E
	v_mfma_f32_16x16x32_fp8_fp8 v[80:83], a[112:113], a[64:65], v[80:83]// 00000000484C: D3F30050 1D428170
	v_mfma_f32_16x16x32_fp8_fp8 v[80:83], a[114:115], a[66:67], v[80:83]// 000000004854: D3F30050 1D428572
	buffer_load_dwordx4 a[152:155], v73, s[24:27], 0 offen     // 00000000485C: E05C1000 80869849
	v_mfma_f32_16x16x32_fp8_fp8 v[80:83], a[116:117], a[68:69], v[80:83]// 000000004864: D3F30050 1D428974
	v_mfma_f32_16x16x32_fp8_fp8 v[80:83], a[118:119], a[70:71], v[80:83]// 00000000486C: D3F30050 1D428D76
	v_mfma_f32_16x16x32_fp8_fp8 v[108:111], a[120:121], a[64:65], v[108:111]// 000000004874: D3F3006C 1DB28178
	v_mfma_f32_16x16x32_fp8_fp8 v[108:111], a[122:123], a[66:67], v[108:111]// 00000000487C: D3F3006C 1DB2857A
	buffer_load_dwordx4 a[156:159], v73, s[24:27], 0 offen offset:1024// 000000004884: E05C1400 80869C49
	buffer_load_dword v58, s[20:23], 0 offen lds               // 00000000488C: E0511000 8005003A
	s_add_u32 m0, 0x100, s50                                   // 000000004894: 807C32FF 00000100
	v_mfma_f32_16x16x32_fp8_fp8 v[108:111], a[124:125], a[68:69], v[108:111]// 00000000489C: D3F3006C 1DB2897C
	v_mfma_f32_16x16x32_fp8_fp8 v[108:111], a[126:127], a[70:71], v[108:111]// 0000000048A4: D3F3006C 1DB28D7E
	buffer_load_dword v59, s[20:23], 0 offen lds               // 0000000048AC: E0511000 8005003B
	s_add_u32 m0, 0x200, s50                                   // 0000000048B4: 807C32FF 00000200
	v_mfma_f32_16x16x32_fp8_fp8 v[84:87], a[112:113], a[72:73], v[84:87]// 0000000048BC: D3F30054 1D529170
	v_mfma_f32_16x16x32_fp8_fp8 v[84:87], a[114:115], a[74:75], v[84:87]// 0000000048C4: D3F30054 1D529572
	buffer_load_dword v60, s[20:23], 0 offen lds               // 0000000048CC: E0511000 8005003C
	s_add_u32 m0, 0x300, s50                                   // 0000000048D4: 807C32FF 00000300
	v_mfma_f32_16x16x32_fp8_fp8 v[84:87], a[116:117], a[76:77], v[84:87]// 0000000048DC: D3F30054 1D529974
	v_mfma_f32_16x16x32_fp8_fp8 v[84:87], a[118:119], a[78:79], v[84:87]// 0000000048E4: D3F30054 1D529D76
	buffer_load_dword v61, s[20:23], 0 offen lds               // 0000000048EC: E0511000 8005003D
	s_add_u32 m0, 0x400, s50                                   // 0000000048F4: 807C32FF 00000400
	v_mfma_f32_16x16x32_fp8_fp8 v[112:115], a[120:121], a[72:73], v[112:115]// 0000000048FC: D3F30070 1DC29178
	v_mfma_f32_16x16x32_fp8_fp8 v[112:115], a[122:123], a[74:75], v[112:115]// 000000004904: D3F30070 1DC2957A
	buffer_load_dword v62, s[20:23], 0 offen lds               // 00000000490C: E0511000 8005003E
	s_add_u32 m0, 0x500, s50                                   // 000000004914: 807C32FF 00000500
	v_mfma_f32_16x16x32_fp8_fp8 v[112:115], a[124:125], a[76:77], v[112:115]// 00000000491C: D3F30070 1DC2997C
	v_mfma_f32_16x16x32_fp8_fp8 v[112:115], a[126:127], a[78:79], v[112:115]// 000000004924: D3F30070 1DC29D7E
	buffer_load_dword v63, s[20:23], 0 offen lds               // 00000000492C: E0511000 8005003F
	s_add_u32 m0, 0x600, s50                                   // 000000004934: 807C32FF 00000600
	v_mfma_f32_16x16x32_fp8_fp8 v[88:91], a[112:113], a[80:81], v[88:91]// 00000000493C: D3F30058 1D62A170
	v_mfma_f32_16x16x32_fp8_fp8 v[88:91], a[114:115], a[82:83], v[88:91]// 000000004944: D3F30058 1D62A572
	buffer_load_dword v64, s[20:23], 0 offen lds               // 00000000494C: E0511000 80050040
	s_add_u32 m0, 0x700, s50                                   // 000000004954: 807C32FF 00000700
	v_mfma_f32_16x16x32_fp8_fp8 v[88:91], a[116:117], a[84:85], v[88:91]// 00000000495C: D3F30058 1D62A974
	v_mfma_f32_16x16x32_fp8_fp8 v[88:91], a[118:119], a[86:87], v[88:91]// 000000004964: D3F30058 1D62AD76
	buffer_load_dword v65, s[20:23], 0 offen lds               // 00000000496C: E0511000 80050041
	s_add_u32 m0, 0x800, s50                                   // 000000004974: 807C32FF 00000800
	v_mfma_f32_16x16x32_fp8_fp8 v[116:119], a[120:121], a[80:81], v[116:119]// 00000000497C: D3F30074 1DD2A178
	v_mfma_f32_16x16x32_fp8_fp8 v[116:119], a[122:123], a[82:83], v[116:119]// 000000004984: D3F30074 1DD2A57A
	buffer_load_dword v66, s[20:23], 0 offen lds               // 00000000498C: E0511000 80050042
	s_add_u32 m0, 0x900, s50                                   // 000000004994: 807C32FF 00000900
	v_mfma_f32_16x16x32_fp8_fp8 v[116:119], a[124:125], a[84:85], v[116:119]// 00000000499C: D3F30074 1DD2A97C
	v_mfma_f32_16x16x32_fp8_fp8 v[116:119], a[126:127], a[86:87], v[116:119]// 0000000049A4: D3F30074 1DD2AD7E
	buffer_load_dword v67, s[20:23], 0 offen lds               // 0000000049AC: E0511000 80050043
	s_add_u32 m0, 0xa00, s50                                   // 0000000049B4: 807C32FF 00000A00
	v_mfma_f32_16x16x32_fp8_fp8 v[92:95], a[112:113], a[88:89], v[92:95]// 0000000049BC: D3F3005C 1D72B170
	v_mfma_f32_16x16x32_fp8_fp8 v[92:95], a[114:115], a[90:91], v[92:95]// 0000000049C4: D3F3005C 1D72B572
	buffer_load_dword v68, s[20:23], 0 offen lds               // 0000000049CC: E0511000 80050044
	s_add_u32 m0, 0xb00, s50                                   // 0000000049D4: 807C32FF 00000B00
	v_mfma_f32_16x16x32_fp8_fp8 v[92:95], a[116:117], a[92:93], v[92:95]// 0000000049DC: D3F3005C 1D72B974
	v_mfma_f32_16x16x32_fp8_fp8 v[92:95], a[118:119], a[94:95], v[92:95]// 0000000049E4: D3F3005C 1D72BD76
	buffer_load_dword v69, s[20:23], 0 offen lds               // 0000000049EC: E0511000 80050045
	s_add_u32 m0, 0xc00, s50                                   // 0000000049F4: 807C32FF 00000C00
	v_mfma_f32_16x16x32_fp8_fp8 v[120:123], a[120:121], a[88:89], v[120:123]// 0000000049FC: D3F30078 1DE2B178
	v_mfma_f32_16x16x32_fp8_fp8 v[120:123], a[122:123], a[90:91], v[120:123]// 000000004A04: D3F30078 1DE2B57A
	buffer_load_dword v70, s[20:23], 0 offen lds               // 000000004A0C: E0511000 80050046
	s_add_u32 m0, 0xd00, s50                                   // 000000004A14: 807C32FF 00000D00
	v_mfma_f32_16x16x32_fp8_fp8 v[120:123], a[124:125], a[92:93], v[120:123]// 000000004A1C: D3F30078 1DE2B97C
	v_mfma_f32_16x16x32_fp8_fp8 v[120:123], a[126:127], a[94:95], v[120:123]// 000000004A24: D3F30078 1DE2BD7E
	buffer_load_dword v71, s[20:23], 0 offen lds               // 000000004A2C: E0511000 80050047
	s_add_u32 m0, 0, s48                                       // 000000004A34: 807C3080
	v_mfma_f32_16x16x32_fp8_fp8 v[96:99], a[112:113], a[96:97], v[96:99]// 000000004A38: D3F30060 1D82C170
	v_mfma_f32_16x16x32_fp8_fp8 v[96:99], a[114:115], a[98:99], v[96:99]// 000000004A40: D3F30060 1D82C572
	v_mfma_f32_16x16x32_fp8_fp8 v[96:99], a[116:117], a[100:101], v[96:99]// 000000004A48: D3F30060 1D82C974
	v_mfma_f32_16x16x32_fp8_fp8 v[96:99], a[118:119], a[102:103], v[96:99]// 000000004A50: D3F30060 1D82CD76
	v_mfma_f32_16x16x32_fp8_fp8 v[124:127], a[120:121], a[96:97], v[124:127]// 000000004A58: D3F3007C 1DF2C178
	v_mfma_f32_16x16x32_fp8_fp8 v[124:127], a[122:123], a[98:99], v[124:127]// 000000004A60: D3F3007C 1DF2C57A
	v_mfma_f32_16x16x32_fp8_fp8 v[124:127], a[124:125], a[100:101], v[124:127]// 000000004A68: D3F3007C 1DF2C97C
	v_mfma_f32_16x16x32_fp8_fp8 v[124:127], a[126:127], a[102:103], v[124:127]// 000000004A70: D3F3007C 1DF2CD7E
	v_mfma_f32_16x16x32_fp8_fp8 v[100:103], a[112:113], a[104:105], v[100:103]// 000000004A78: D3F30064 1D92D170
	v_mfma_f32_16x16x32_fp8_fp8 v[100:103], a[114:115], a[106:107], v[100:103]// 000000004A80: D3F30064 1D92D572
	v_mfma_f32_16x16x32_fp8_fp8 v[100:103], a[116:117], a[108:109], v[100:103]// 000000004A88: D3F30064 1D92D974
	v_mfma_f32_16x16x32_fp8_fp8 v[100:103], a[118:119], a[110:111], v[100:103]// 000000004A90: D3F30064 1D92DD76
	v_mfma_f32_16x16x32_fp8_fp8 v[128:131], a[120:121], a[104:105], v[128:131]// 000000004A98: D3F30080 1E02D178
	v_mfma_f32_16x16x32_fp8_fp8 v[128:131], a[122:123], a[106:107], v[128:131]// 000000004AA0: D3F30080 1E02D57A
	v_mfma_f32_16x16x32_fp8_fp8 v[128:131], a[124:125], a[108:109], v[128:131]// 000000004AA8: D3F30080 1E02D97C
	v_mfma_f32_16x16x32_fp8_fp8 v[128:131], a[126:127], a[110:111], v[128:131]// 000000004AB0: D3F30080 1E02DD7E
	s_waitcnt vmcnt(18)                                        // 000000004AB8: BF8C4F72
	s_barrier                                                  // 000000004ABC: BF8A0000
	v_mfma_f32_16x16x32_fp8_fp8 v[132:135], a[128:129], a[56:57], v[132:135]// 000000004AC0: D3F30084 1E127180
	v_mfma_f32_16x16x32_fp8_fp8 v[132:135], a[130:131], a[58:59], v[132:135]// 000000004AC8: D3F30084 1E127582
	buffer_load_dwordx4 a[112:115], v72, s[84:87], 0 offen     // 000000004AD0: E05C1000 80957048
	v_mfma_f32_16x16x32_fp8_fp8 v[132:135], a[132:133], a[60:61], v[132:135]// 000000004AD8: D3F30084 1E127984
	v_mfma_f32_16x16x32_fp8_fp8 v[132:135], a[134:135], a[62:63], v[132:135]// 000000004AE0: D3F30084 1E127D86
	ds_read_b128 a[0:3], v2 offset:14464                       // 000000004AE8: DBFE3880 00000002
	ds_read_b128 a[4:7], v2 offset:14528                       // 000000004AF0: DBFE38C0 04000002
	v_mfma_f32_16x16x32_fp8_fp8 v[160:163], a[136:137], a[56:57], v[160:163]// 000000004AF8: D3F300A0 1E827188
	v_mfma_f32_16x16x32_fp8_fp8 v[160:163], a[138:139], a[58:59], v[160:163]// 000000004B00: D3F300A0 1E82758A
	buffer_load_dwordx4 a[116:119], v72, s[84:87], 0 offen offset:1024// 000000004B08: E05C1400 80957448
	v_mfma_f32_16x16x32_fp8_fp8 v[160:163], a[140:141], a[60:61], v[160:163]// 000000004B10: D3F300A0 1E82798C
	v_mfma_f32_16x16x32_fp8_fp8 v[160:163], a[142:143], a[62:63], v[160:163]// 000000004B18: D3F300A0 1E827D8E
	ds_read_b128 a[8:11], v2 offset:14976                      // 000000004B20: DBFE3A80 08000002
	ds_read_b128 a[12:15], v2 offset:15040                     // 000000004B28: DBFE3AC0 0C000002
	v_mfma_f32_16x16x32_fp8_fp8 v[136:139], a[128:129], a[64:65], v[136:139]// 000000004B30: D3F30088 1E228180
	v_mfma_f32_16x16x32_fp8_fp8 v[136:139], a[130:131], a[66:67], v[136:139]// 000000004B38: D3F30088 1E228582
	buffer_load_dwordx4 a[120:123], v73, s[84:87], 0 offen     // 000000004B40: E05C1000 80957849
	v_mfma_f32_16x16x32_fp8_fp8 v[136:139], a[132:133], a[68:69], v[136:139]// 000000004B48: D3F30088 1E228984
	v_mfma_f32_16x16x32_fp8_fp8 v[136:139], a[134:135], a[70:71], v[136:139]// 000000004B50: D3F30088 1E228D86
	ds_read_b128 a[16:19], v2 offset:15488                     // 000000004B58: DBFE3C80 10000002
	ds_read_b128 a[20:23], v2 offset:15552                     // 000000004B60: DBFE3CC0 14000002
	v_mfma_f32_16x16x32_fp8_fp8 v[164:167], a[136:137], a[64:65], v[164:167]// 000000004B68: D3F300A4 1E928188
	v_mfma_f32_16x16x32_fp8_fp8 v[164:167], a[138:139], a[66:67], v[164:167]// 000000004B70: D3F300A4 1E92858A
	buffer_load_dwordx4 a[124:127], v73, s[84:87], 0 offen offset:1024// 000000004B78: E05C1400 80957C49
	v_mfma_f32_16x16x32_fp8_fp8 v[164:167], a[140:141], a[68:69], v[164:167]// 000000004B80: D3F300A4 1E92898C
	v_mfma_f32_16x16x32_fp8_fp8 v[164:167], a[142:143], a[70:71], v[164:167]// 000000004B88: D3F300A4 1E928D8E
	ds_read_b128 a[24:27], v2 offset:16000                     // 000000004B90: DBFE3E80 18000002
	ds_read_b128 a[28:31], v2 offset:16064                     // 000000004B98: DBFE3EC0 1C000002
	v_mfma_f32_16x16x32_fp8_fp8 v[140:143], a[128:129], a[72:73], v[140:143]// 000000004BA0: D3F3008C 1E329180
	v_mfma_f32_16x16x32_fp8_fp8 v[140:143], a[130:131], a[74:75], v[140:143]// 000000004BA8: D3F3008C 1E329582
	v_mfma_f32_16x16x32_fp8_fp8 v[140:143], a[132:133], a[76:77], v[140:143]// 000000004BB0: D3F3008C 1E329984
	v_mfma_f32_16x16x32_fp8_fp8 v[140:143], a[134:135], a[78:79], v[140:143]// 000000004BB8: D3F3008C 1E329D86
	ds_read_b128 a[32:35], v2 offset:16512                     // 000000004BC0: DBFE4080 20000002
	ds_read_b128 a[36:39], v2 offset:16576                     // 000000004BC8: DBFE40C0 24000002
	v_mfma_f32_16x16x32_fp8_fp8 v[168:171], a[136:137], a[72:73], v[168:171]// 000000004BD0: D3F300A8 1EA29188
	v_mfma_f32_16x16x32_fp8_fp8 v[168:171], a[138:139], a[74:75], v[168:171]// 000000004BD8: D3F300A8 1EA2958A
	v_mfma_f32_16x16x32_fp8_fp8 v[168:171], a[140:141], a[76:77], v[168:171]// 000000004BE0: D3F300A8 1EA2998C
	v_mfma_f32_16x16x32_fp8_fp8 v[168:171], a[142:143], a[78:79], v[168:171]// 000000004BE8: D3F300A8 1EA29D8E
	ds_read_b128 a[40:43], v2 offset:17024                     // 000000004BF0: DBFE4280 28000002
	ds_read_b128 a[44:47], v2 offset:17088                     // 000000004BF8: DBFE42C0 2C000002
	v_mfma_f32_16x16x32_fp8_fp8 v[144:147], a[128:129], a[80:81], v[144:147]// 000000004C00: D3F30090 1E42A180
	v_mfma_f32_16x16x32_fp8_fp8 v[144:147], a[130:131], a[82:83], v[144:147]// 000000004C08: D3F30090 1E42A582
	v_mfma_f32_16x16x32_fp8_fp8 v[144:147], a[132:133], a[84:85], v[144:147]// 000000004C10: D3F30090 1E42A984
	v_mfma_f32_16x16x32_fp8_fp8 v[144:147], a[134:135], a[86:87], v[144:147]// 000000004C18: D3F30090 1E42AD86
	ds_read_b128 a[48:51], v2 offset:17536                     // 000000004C20: DBFE4480 30000002
	ds_read_b128 a[52:55], v2 offset:17600                     // 000000004C28: DBFE44C0 34000002
	v_mfma_f32_16x16x32_fp8_fp8 v[172:175], a[136:137], a[80:81], v[172:175]// 000000004C30: D3F300AC 1EB2A188
	v_mfma_f32_16x16x32_fp8_fp8 v[172:175], a[138:139], a[82:83], v[172:175]// 000000004C38: D3F300AC 1EB2A58A
	v_mfma_f32_16x16x32_fp8_fp8 v[172:175], a[140:141], a[84:85], v[172:175]// 000000004C40: D3F300AC 1EB2A98C
	v_mfma_f32_16x16x32_fp8_fp8 v[172:175], a[142:143], a[86:87], v[172:175]// 000000004C48: D3F300AC 1EB2AD8E
	v_mfma_f32_16x16x32_fp8_fp8 v[148:151], a[128:129], a[88:89], v[148:151]// 000000004C50: D3F30094 1E52B180
	v_mfma_f32_16x16x32_fp8_fp8 v[148:151], a[130:131], a[90:91], v[148:151]// 000000004C58: D3F30094 1E52B582
	v_mfma_f32_16x16x32_fp8_fp8 v[148:151], a[132:133], a[92:93], v[148:151]// 000000004C60: D3F30094 1E52B984
	v_mfma_f32_16x16x32_fp8_fp8 v[148:151], a[134:135], a[94:95], v[148:151]// 000000004C68: D3F30094 1E52BD86
	v_mfma_f32_16x16x32_fp8_fp8 v[176:179], a[136:137], a[88:89], v[176:179]// 000000004C70: D3F300B0 1EC2B188
	v_mfma_f32_16x16x32_fp8_fp8 v[176:179], a[138:139], a[90:91], v[176:179]// 000000004C78: D3F300B0 1EC2B58A
	v_mfma_f32_16x16x32_fp8_fp8 v[176:179], a[140:141], a[92:93], v[176:179]// 000000004C80: D3F300B0 1EC2B98C
	v_mfma_f32_16x16x32_fp8_fp8 v[176:179], a[142:143], a[94:95], v[176:179]// 000000004C88: D3F300B0 1EC2BD8E
	v_mfma_f32_16x16x32_fp8_fp8 v[152:155], a[128:129], a[96:97], v[152:155]// 000000004C90: D3F30098 1E62C180
	v_mfma_f32_16x16x32_fp8_fp8 v[152:155], a[130:131], a[98:99], v[152:155]// 000000004C98: D3F30098 1E62C582
	v_mfma_f32_16x16x32_fp8_fp8 v[152:155], a[132:133], a[100:101], v[152:155]// 000000004CA0: D3F30098 1E62C984
	v_mfma_f32_16x16x32_fp8_fp8 v[152:155], a[134:135], a[102:103], v[152:155]// 000000004CA8: D3F30098 1E62CD86
	v_mfma_f32_16x16x32_fp8_fp8 v[180:183], a[136:137], a[96:97], v[180:183]// 000000004CB0: D3F300B4 1ED2C188
	v_mfma_f32_16x16x32_fp8_fp8 v[180:183], a[138:139], a[98:99], v[180:183]// 000000004CB8: D3F300B4 1ED2C58A
	v_mfma_f32_16x16x32_fp8_fp8 v[180:183], a[140:141], a[100:101], v[180:183]// 000000004CC0: D3F300B4 1ED2C98C
	v_mfma_f32_16x16x32_fp8_fp8 v[180:183], a[142:143], a[102:103], v[180:183]// 000000004CC8: D3F300B4 1ED2CD8E
	v_mfma_f32_16x16x32_fp8_fp8 v[156:159], a[128:129], a[104:105], v[156:159]// 000000004CD0: D3F3009C 1E72D180
	s_add_u32 s60, 0x180, s80                                  // 000000004CD8: 803C50FF 00000180
	s_cmp_lt_u32 s60, s81                                      // 000000004CE0: BF0A513C
	s_cselect_b32 s57, s57, 0                                  // 000000004CE4: 85398039
	v_mfma_f32_16x16x32_fp8_fp8 v[156:159], a[130:131], a[106:107], v[156:159]// 000000004CE8: D3F3009C 1E72D582
	s_add_u32 s60, 0x100, s80                                  // 000000004CF0: 803C50FF 00000100
	s_cmp_lt_u32 s60, s81                                      // 000000004CF8: BF0A513C
	s_cselect_b32 s58, s58, 0                                  // 000000004CFC: 853A803A
	v_mfma_f32_16x16x32_fp8_fp8 v[156:159], a[132:133], a[108:109], v[156:159]// 000000004D00: D3F3009C 1E72D984
	s_add_u32 s60, 0x100, s80                                  // 000000004D08: 803C50FF 00000100
	s_cmp_lt_u32 s60, s81                                      // 000000004D10: BF0A513C
	s_cselect_b32 s83, s83, 0                                  // 000000004D14: 85538053
	v_mfma_f32_16x16x32_fp8_fp8 v[156:159], a[134:135], a[110:111], v[156:159]// 000000004D18: D3F3009C 1E72DD86
	s_add_u32 s24, s58, s24                                    // 000000004D20: 8018183A
	s_addc_u32 s25, 0, s25                                     // 000000004D24: 82191980
	v_mfma_f32_16x16x32_fp8_fp8 v[184:187], a[136:137], a[104:105], v[184:187]// 000000004D28: D3F300B8 1EE2D188
	s_add_u32 s20, s57, s20                                    // 000000004D30: 80141439
	s_addc_u32 s21, 0, s21                                     // 000000004D34: 82151580
	v_mfma_f32_16x16x32_fp8_fp8 v[184:187], a[138:139], a[106:107], v[184:187]// 000000004D38: D3F300B8 1EE2D58A
	s_add_u32 s84, s83, s84                                    // 000000004D40: 80545453
	s_addc_u32 s85, 0, s85                                     // 000000004D44: 82555580
	v_mfma_f32_16x16x32_fp8_fp8 v[184:187], a[140:141], a[108:109], v[184:187]// 000000004D48: D3F300B8 1EE2D98C
	v_mfma_f32_16x16x32_fp8_fp8 v[184:187], a[142:143], a[110:111], v[184:187]// 000000004D50: D3F300B8 1EE2DD8E
	s_addk_i32 s80, 0x80                                       // 000000004D58: B7500080
	s_cmp_lt_i32 s80, s81                                      // 000000004D5C: BF045150
	s_cbranch_scc0 label_0B90                                  // 000000004D60: BF8402B7
	s_waitcnt vmcnt(18) lgkmcnt(0)                             // 000000004D64: BF8C4072
	v_mfma_f32_16x16x32_fp8_fp8 v[76:79], a[144:145], a[0:1], v[76:79]// 000000004D68: D3F3004C 1D320190
	v_mfma_f32_16x16x32_fp8_fp8 v[76:79], a[146:147], a[2:3], v[76:79]// 000000004D70: D3F3004C 1D320592
	buffer_load_dwordx4 a[128:131], v72, s[24:27], 0 offen     // 000000004D78: E05C1000 80868048
	v_mfma_f32_16x16x32_fp8_fp8 v[76:79], a[148:149], a[4:5], v[76:79]// 000000004D80: D3F3004C 1D320994
	v_mfma_f32_16x16x32_fp8_fp8 v[76:79], a[150:151], a[6:7], v[76:79]// 000000004D88: D3F3004C 1D320D96
	v_mfma_f32_16x16x32_fp8_fp8 v[104:107], a[152:153], a[0:1], v[104:107]// 000000004D90: D3F30068 1DA20198
	v_mfma_f32_16x16x32_fp8_fp8 v[104:107], a[154:155], a[2:3], v[104:107]// 000000004D98: D3F30068 1DA2059A
	buffer_load_dwordx4 a[132:135], v72, s[24:27], 0 offen offset:1024// 000000004DA0: E05C1400 80868448
	v_mfma_f32_16x16x32_fp8_fp8 v[104:107], a[156:157], a[4:5], v[104:107]// 000000004DA8: D3F30068 1DA2099C
	v_mfma_f32_16x16x32_fp8_fp8 v[104:107], a[158:159], a[6:7], v[104:107]// 000000004DB0: D3F30068 1DA20D9E
	v_mfma_f32_16x16x32_fp8_fp8 v[80:83], a[144:145], a[8:9], v[80:83]// 000000004DB8: D3F30050 1D421190
	v_mfma_f32_16x16x32_fp8_fp8 v[80:83], a[146:147], a[10:11], v[80:83]// 000000004DC0: D3F30050 1D421592
	buffer_load_dwordx4 a[136:139], v73, s[24:27], 0 offen     // 000000004DC8: E05C1000 80868849
	v_mfma_f32_16x16x32_fp8_fp8 v[80:83], a[148:149], a[12:13], v[80:83]// 000000004DD0: D3F30050 1D421994
	v_mfma_f32_16x16x32_fp8_fp8 v[80:83], a[150:151], a[14:15], v[80:83]// 000000004DD8: D3F30050 1D421D96
	v_mfma_f32_16x16x32_fp8_fp8 v[108:111], a[152:153], a[8:9], v[108:111]// 000000004DE0: D3F3006C 1DB21198
	v_mfma_f32_16x16x32_fp8_fp8 v[108:111], a[154:155], a[10:11], v[108:111]// 000000004DE8: D3F3006C 1DB2159A
	buffer_load_dwordx4 a[140:143], v73, s[24:27], 0 offen offset:1024// 000000004DF0: E05C1400 80868C49
	buffer_load_dword v58, s[20:23], 0 offen lds               // 000000004DF8: E0511000 8005003A
	s_add_u32 m0, 0x100, s48                                   // 000000004E00: 807C30FF 00000100
	v_mfma_f32_16x16x32_fp8_fp8 v[108:111], a[156:157], a[12:13], v[108:111]// 000000004E08: D3F3006C 1DB2199C
	v_mfma_f32_16x16x32_fp8_fp8 v[108:111], a[158:159], a[14:15], v[108:111]// 000000004E10: D3F3006C 1DB21D9E
	buffer_load_dword v59, s[20:23], 0 offen lds               // 000000004E18: E0511000 8005003B
	s_add_u32 m0, 0x200, s48                                   // 000000004E20: 807C30FF 00000200
	v_mfma_f32_16x16x32_fp8_fp8 v[84:87], a[144:145], a[16:17], v[84:87]// 000000004E28: D3F30054 1D522190
	v_mfma_f32_16x16x32_fp8_fp8 v[84:87], a[146:147], a[18:19], v[84:87]// 000000004E30: D3F30054 1D522592
	buffer_load_dword v60, s[20:23], 0 offen lds               // 000000004E38: E0511000 8005003C
	s_add_u32 m0, 0x300, s48                                   // 000000004E40: 807C30FF 00000300
	v_mfma_f32_16x16x32_fp8_fp8 v[84:87], a[148:149], a[20:21], v[84:87]// 000000004E48: D3F30054 1D522994
	v_mfma_f32_16x16x32_fp8_fp8 v[84:87], a[150:151], a[22:23], v[84:87]// 000000004E50: D3F30054 1D522D96
	buffer_load_dword v61, s[20:23], 0 offen lds               // 000000004E58: E0511000 8005003D
	s_add_u32 m0, 0x400, s48                                   // 000000004E60: 807C30FF 00000400
	v_mfma_f32_16x16x32_fp8_fp8 v[112:115], a[152:153], a[16:17], v[112:115]// 000000004E68: D3F30070 1DC22198
	v_mfma_f32_16x16x32_fp8_fp8 v[112:115], a[154:155], a[18:19], v[112:115]// 000000004E70: D3F30070 1DC2259A
	buffer_load_dword v62, s[20:23], 0 offen lds               // 000000004E78: E0511000 8005003E
	s_add_u32 m0, 0x500, s48                                   // 000000004E80: 807C30FF 00000500
	v_mfma_f32_16x16x32_fp8_fp8 v[112:115], a[156:157], a[20:21], v[112:115]// 000000004E88: D3F30070 1DC2299C
	v_mfma_f32_16x16x32_fp8_fp8 v[112:115], a[158:159], a[22:23], v[112:115]// 000000004E90: D3F30070 1DC22D9E
	buffer_load_dword v63, s[20:23], 0 offen lds               // 000000004E98: E0511000 8005003F
	s_add_u32 m0, 0x600, s48                                   // 000000004EA0: 807C30FF 00000600
	v_mfma_f32_16x16x32_fp8_fp8 v[88:91], a[144:145], a[24:25], v[88:91]// 000000004EA8: D3F30058 1D623190
	v_mfma_f32_16x16x32_fp8_fp8 v[88:91], a[146:147], a[26:27], v[88:91]// 000000004EB0: D3F30058 1D623592
	buffer_load_dword v64, s[20:23], 0 offen lds               // 000000004EB8: E0511000 80050040
	s_add_u32 m0, 0x700, s48                                   // 000000004EC0: 807C30FF 00000700
	v_mfma_f32_16x16x32_fp8_fp8 v[88:91], a[148:149], a[28:29], v[88:91]// 000000004EC8: D3F30058 1D623994
	v_mfma_f32_16x16x32_fp8_fp8 v[88:91], a[150:151], a[30:31], v[88:91]// 000000004ED0: D3F30058 1D623D96
	buffer_load_dword v65, s[20:23], 0 offen lds               // 000000004ED8: E0511000 80050041
	s_add_u32 m0, 0x800, s48                                   // 000000004EE0: 807C30FF 00000800
	v_mfma_f32_16x16x32_fp8_fp8 v[116:119], a[152:153], a[24:25], v[116:119]// 000000004EE8: D3F30074 1DD23198
	v_mfma_f32_16x16x32_fp8_fp8 v[116:119], a[154:155], a[26:27], v[116:119]// 000000004EF0: D3F30074 1DD2359A
	buffer_load_dword v66, s[20:23], 0 offen lds               // 000000004EF8: E0511000 80050042
	s_add_u32 m0, 0x900, s48                                   // 000000004F00: 807C30FF 00000900
	v_mfma_f32_16x16x32_fp8_fp8 v[116:119], a[156:157], a[28:29], v[116:119]// 000000004F08: D3F30074 1DD2399C
	v_mfma_f32_16x16x32_fp8_fp8 v[116:119], a[158:159], a[30:31], v[116:119]// 000000004F10: D3F30074 1DD23D9E
	buffer_load_dword v67, s[20:23], 0 offen lds               // 000000004F18: E0511000 80050043
	s_add_u32 m0, 0xa00, s48                                   // 000000004F20: 807C30FF 00000A00
	v_mfma_f32_16x16x32_fp8_fp8 v[92:95], a[144:145], a[32:33], v[92:95]// 000000004F28: D3F3005C 1D724190
	v_mfma_f32_16x16x32_fp8_fp8 v[92:95], a[146:147], a[34:35], v[92:95]// 000000004F30: D3F3005C 1D724592
	buffer_load_dword v68, s[20:23], 0 offen lds               // 000000004F38: E0511000 80050044
	s_add_u32 m0, 0xb00, s48                                   // 000000004F40: 807C30FF 00000B00
	v_mfma_f32_16x16x32_fp8_fp8 v[92:95], a[148:149], a[36:37], v[92:95]// 000000004F48: D3F3005C 1D724994
	v_mfma_f32_16x16x32_fp8_fp8 v[92:95], a[150:151], a[38:39], v[92:95]// 000000004F50: D3F3005C 1D724D96
	buffer_load_dword v69, s[20:23], 0 offen lds               // 000000004F58: E0511000 80050045
	s_add_u32 m0, 0xc00, s48                                   // 000000004F60: 807C30FF 00000C00
	v_mfma_f32_16x16x32_fp8_fp8 v[120:123], a[152:153], a[32:33], v[120:123]// 000000004F68: D3F30078 1DE24198
	v_mfma_f32_16x16x32_fp8_fp8 v[120:123], a[154:155], a[34:35], v[120:123]// 000000004F70: D3F30078 1DE2459A
	buffer_load_dword v70, s[20:23], 0 offen lds               // 000000004F78: E0511000 80050046
	s_add_u32 m0, 0xd00, s48                                   // 000000004F80: 807C30FF 00000D00
	v_mfma_f32_16x16x32_fp8_fp8 v[120:123], a[156:157], a[36:37], v[120:123]// 000000004F88: D3F30078 1DE2499C
	v_mfma_f32_16x16x32_fp8_fp8 v[120:123], a[158:159], a[38:39], v[120:123]// 000000004F90: D3F30078 1DE24D9E
	buffer_load_dword v71, s[20:23], 0 offen lds               // 000000004F98: E0511000 80050047
	s_add_u32 m0, 0, s49                                       // 000000004FA0: 807C3180
	v_mfma_f32_16x16x32_fp8_fp8 v[96:99], a[144:145], a[40:41], v[96:99]// 000000004FA4: D3F30060 1D825190
	v_mfma_f32_16x16x32_fp8_fp8 v[96:99], a[146:147], a[42:43], v[96:99]// 000000004FAC: D3F30060 1D825592
	v_mfma_f32_16x16x32_fp8_fp8 v[96:99], a[148:149], a[44:45], v[96:99]// 000000004FB4: D3F30060 1D825994
	v_mfma_f32_16x16x32_fp8_fp8 v[96:99], a[150:151], a[46:47], v[96:99]// 000000004FBC: D3F30060 1D825D96
	v_mfma_f32_16x16x32_fp8_fp8 v[124:127], a[152:153], a[40:41], v[124:127]// 000000004FC4: D3F3007C 1DF25198
	v_mfma_f32_16x16x32_fp8_fp8 v[124:127], a[154:155], a[42:43], v[124:127]// 000000004FCC: D3F3007C 1DF2559A
	v_mfma_f32_16x16x32_fp8_fp8 v[124:127], a[156:157], a[44:45], v[124:127]// 000000004FD4: D3F3007C 1DF2599C
	v_mfma_f32_16x16x32_fp8_fp8 v[124:127], a[158:159], a[46:47], v[124:127]// 000000004FDC: D3F3007C 1DF25D9E
	v_mfma_f32_16x16x32_fp8_fp8 v[100:103], a[144:145], a[48:49], v[100:103]// 000000004FE4: D3F30064 1D926190
	v_mfma_f32_16x16x32_fp8_fp8 v[100:103], a[146:147], a[50:51], v[100:103]// 000000004FEC: D3F30064 1D926592
	v_mfma_f32_16x16x32_fp8_fp8 v[100:103], a[148:149], a[52:53], v[100:103]// 000000004FF4: D3F30064 1D926994
	v_mfma_f32_16x16x32_fp8_fp8 v[100:103], a[150:151], a[54:55], v[100:103]// 000000004FFC: D3F30064 1D926D96
	v_mfma_f32_16x16x32_fp8_fp8 v[128:131], a[152:153], a[48:49], v[128:131]// 000000005004: D3F30080 1E026198
	v_mfma_f32_16x16x32_fp8_fp8 v[128:131], a[154:155], a[50:51], v[128:131]// 00000000500C: D3F30080 1E02659A
	v_mfma_f32_16x16x32_fp8_fp8 v[128:131], a[156:157], a[52:53], v[128:131]// 000000005014: D3F30080 1E02699C
	v_mfma_f32_16x16x32_fp8_fp8 v[128:131], a[158:159], a[54:55], v[128:131]// 00000000501C: D3F30080 1E026D9E
	s_waitcnt vmcnt(18)                                        // 000000005024: BF8C4F72
	s_barrier                                                  // 000000005028: BF8A0000
	v_mfma_f32_16x16x32_fp8_fp8 v[132:135], a[112:113], a[0:1], v[132:135]// 00000000502C: D3F30084 1E120170
	v_mfma_f32_16x16x32_fp8_fp8 v[132:135], a[114:115], a[2:3], v[132:135]// 000000005034: D3F30084 1E120572
	buffer_load_dwordx4 a[144:147], v72, s[84:87], 0 offen     // 00000000503C: E05C1000 80959048
	v_mfma_f32_16x16x32_fp8_fp8 v[132:135], a[116:117], a[4:5], v[132:135]// 000000005044: D3F30084 1E120974
	v_mfma_f32_16x16x32_fp8_fp8 v[132:135], a[118:119], a[6:7], v[132:135]// 00000000504C: D3F30084 1E120D76
	ds_read_b128 a[56:59], v2 offset:28928                     // 000000005054: DBFE7100 38000002
	ds_read_b128 a[60:63], v2 offset:28992                     // 00000000505C: DBFE7140 3C000002
	v_mfma_f32_16x16x32_fp8_fp8 v[160:163], a[120:121], a[0:1], v[160:163]// 000000005064: D3F300A0 1E820178
	v_mfma_f32_16x16x32_fp8_fp8 v[160:163], a[122:123], a[2:3], v[160:163]// 00000000506C: D3F300A0 1E82057A
	buffer_load_dwordx4 a[148:151], v72, s[84:87], 0 offen offset:1024// 000000005074: E05C1400 80959448
	v_mfma_f32_16x16x32_fp8_fp8 v[160:163], a[124:125], a[4:5], v[160:163]// 00000000507C: D3F300A0 1E82097C
	v_mfma_f32_16x16x32_fp8_fp8 v[160:163], a[126:127], a[6:7], v[160:163]// 000000005084: D3F300A0 1E820D7E
	ds_read_b128 a[64:67], v2 offset:29440                     // 00000000508C: DBFE7300 40000002
	ds_read_b128 a[68:71], v2 offset:29504                     // 000000005094: DBFE7340 44000002
	v_mfma_f32_16x16x32_fp8_fp8 v[136:139], a[112:113], a[8:9], v[136:139]// 00000000509C: D3F30088 1E221170
	v_mfma_f32_16x16x32_fp8_fp8 v[136:139], a[114:115], a[10:11], v[136:139]// 0000000050A4: D3F30088 1E221572
	buffer_load_dwordx4 a[152:155], v73, s[84:87], 0 offen     // 0000000050AC: E05C1000 80959849
	v_mfma_f32_16x16x32_fp8_fp8 v[136:139], a[116:117], a[12:13], v[136:139]// 0000000050B4: D3F30088 1E221974
	v_mfma_f32_16x16x32_fp8_fp8 v[136:139], a[118:119], a[14:15], v[136:139]// 0000000050BC: D3F30088 1E221D76
	ds_read_b128 a[72:75], v2 offset:29952                     // 0000000050C4: DBFE7500 48000002
	ds_read_b128 a[76:79], v2 offset:30016                     // 0000000050CC: DBFE7540 4C000002
	v_mfma_f32_16x16x32_fp8_fp8 v[164:167], a[120:121], a[8:9], v[164:167]// 0000000050D4: D3F300A4 1E921178
	v_mfma_f32_16x16x32_fp8_fp8 v[164:167], a[122:123], a[10:11], v[164:167]// 0000000050DC: D3F300A4 1E92157A
	buffer_load_dwordx4 a[156:159], v73, s[84:87], 0 offen offset:1024// 0000000050E4: E05C1400 80959C49
	v_mfma_f32_16x16x32_fp8_fp8 v[164:167], a[124:125], a[12:13], v[164:167]// 0000000050EC: D3F300A4 1E92197C
	v_mfma_f32_16x16x32_fp8_fp8 v[164:167], a[126:127], a[14:15], v[164:167]// 0000000050F4: D3F300A4 1E921D7E
	ds_read_b128 a[80:83], v2 offset:30464                     // 0000000050FC: DBFE7700 50000002
	ds_read_b128 a[84:87], v2 offset:30528                     // 000000005104: DBFE7740 54000002
	v_mfma_f32_16x16x32_fp8_fp8 v[140:143], a[112:113], a[16:17], v[140:143]// 00000000510C: D3F3008C 1E322170
	v_mfma_f32_16x16x32_fp8_fp8 v[140:143], a[114:115], a[18:19], v[140:143]// 000000005114: D3F3008C 1E322572
	v_mfma_f32_16x16x32_fp8_fp8 v[140:143], a[116:117], a[20:21], v[140:143]// 00000000511C: D3F3008C 1E322974
	v_mfma_f32_16x16x32_fp8_fp8 v[140:143], a[118:119], a[22:23], v[140:143]// 000000005124: D3F3008C 1E322D76
	ds_read_b128 a[88:91], v2 offset:30976                     // 00000000512C: DBFE7900 58000002
	ds_read_b128 a[92:95], v2 offset:31040                     // 000000005134: DBFE7940 5C000002
	v_mfma_f32_16x16x32_fp8_fp8 v[168:171], a[120:121], a[16:17], v[168:171]// 00000000513C: D3F300A8 1EA22178
	v_mfma_f32_16x16x32_fp8_fp8 v[168:171], a[122:123], a[18:19], v[168:171]// 000000005144: D3F300A8 1EA2257A
	v_mfma_f32_16x16x32_fp8_fp8 v[168:171], a[124:125], a[20:21], v[168:171]// 00000000514C: D3F300A8 1EA2297C
	v_mfma_f32_16x16x32_fp8_fp8 v[168:171], a[126:127], a[22:23], v[168:171]// 000000005154: D3F300A8 1EA22D7E
	ds_read_b128 a[96:99], v2 offset:31488                     // 00000000515C: DBFE7B00 60000002
	ds_read_b128 a[100:103], v2 offset:31552                   // 000000005164: DBFE7B40 64000002
	v_mfma_f32_16x16x32_fp8_fp8 v[144:147], a[112:113], a[24:25], v[144:147]// 00000000516C: D3F30090 1E423170
	v_mfma_f32_16x16x32_fp8_fp8 v[144:147], a[114:115], a[26:27], v[144:147]// 000000005174: D3F30090 1E423572
	v_mfma_f32_16x16x32_fp8_fp8 v[144:147], a[116:117], a[28:29], v[144:147]// 00000000517C: D3F30090 1E423974
	v_mfma_f32_16x16x32_fp8_fp8 v[144:147], a[118:119], a[30:31], v[144:147]// 000000005184: D3F30090 1E423D76
	ds_read_b128 a[104:107], v2 offset:32000                   // 00000000518C: DBFE7D00 68000002
	ds_read_b128 a[108:111], v2 offset:32064                   // 000000005194: DBFE7D40 6C000002
	v_mfma_f32_16x16x32_fp8_fp8 v[172:175], a[120:121], a[24:25], v[172:175]// 00000000519C: D3F300AC 1EB23178
	v_mfma_f32_16x16x32_fp8_fp8 v[172:175], a[122:123], a[26:27], v[172:175]// 0000000051A4: D3F300AC 1EB2357A
	v_mfma_f32_16x16x32_fp8_fp8 v[172:175], a[124:125], a[28:29], v[172:175]// 0000000051AC: D3F300AC 1EB2397C
	v_mfma_f32_16x16x32_fp8_fp8 v[172:175], a[126:127], a[30:31], v[172:175]// 0000000051B4: D3F300AC 1EB23D7E
	v_mfma_f32_16x16x32_fp8_fp8 v[148:151], a[112:113], a[32:33], v[148:151]// 0000000051BC: D3F30094 1E524170
	v_mfma_f32_16x16x32_fp8_fp8 v[148:151], a[114:115], a[34:35], v[148:151]// 0000000051C4: D3F30094 1E524572
	v_mfma_f32_16x16x32_fp8_fp8 v[148:151], a[116:117], a[36:37], v[148:151]// 0000000051CC: D3F30094 1E524974
	v_mfma_f32_16x16x32_fp8_fp8 v[148:151], a[118:119], a[38:39], v[148:151]// 0000000051D4: D3F30094 1E524D76
	v_mfma_f32_16x16x32_fp8_fp8 v[176:179], a[120:121], a[32:33], v[176:179]// 0000000051DC: D3F300B0 1EC24178
	v_mfma_f32_16x16x32_fp8_fp8 v[176:179], a[122:123], a[34:35], v[176:179]// 0000000051E4: D3F300B0 1EC2457A
	v_mfma_f32_16x16x32_fp8_fp8 v[176:179], a[124:125], a[36:37], v[176:179]// 0000000051EC: D3F300B0 1EC2497C
	v_mfma_f32_16x16x32_fp8_fp8 v[176:179], a[126:127], a[38:39], v[176:179]// 0000000051F4: D3F300B0 1EC24D7E
	v_mfma_f32_16x16x32_fp8_fp8 v[152:155], a[112:113], a[40:41], v[152:155]// 0000000051FC: D3F30098 1E625170
	v_mfma_f32_16x16x32_fp8_fp8 v[152:155], a[114:115], a[42:43], v[152:155]// 000000005204: D3F30098 1E625572
	v_mfma_f32_16x16x32_fp8_fp8 v[152:155], a[116:117], a[44:45], v[152:155]// 00000000520C: D3F30098 1E625974
	v_mfma_f32_16x16x32_fp8_fp8 v[152:155], a[118:119], a[46:47], v[152:155]// 000000005214: D3F30098 1E625D76
	v_mfma_f32_16x16x32_fp8_fp8 v[180:183], a[120:121], a[40:41], v[180:183]// 00000000521C: D3F300B4 1ED25178
	v_mfma_f32_16x16x32_fp8_fp8 v[180:183], a[122:123], a[42:43], v[180:183]// 000000005224: D3F300B4 1ED2557A
	v_mfma_f32_16x16x32_fp8_fp8 v[180:183], a[124:125], a[44:45], v[180:183]// 00000000522C: D3F300B4 1ED2597C
	v_mfma_f32_16x16x32_fp8_fp8 v[180:183], a[126:127], a[46:47], v[180:183]// 000000005234: D3F300B4 1ED25D7E
	v_mfma_f32_16x16x32_fp8_fp8 v[156:159], a[112:113], a[48:49], v[156:159]// 00000000523C: D3F3009C 1E726170
	s_add_u32 s60, 0x180, s80                                  // 000000005244: 803C50FF 00000180
	s_cmp_lt_u32 s60, s81                                      // 00000000524C: BF0A513C
	s_cselect_b32 s57, s57, 0                                  // 000000005250: 85398039
	v_mfma_f32_16x16x32_fp8_fp8 v[156:159], a[114:115], a[50:51], v[156:159]// 000000005254: D3F3009C 1E726572
	s_add_u32 s60, 0x100, s80                                  // 00000000525C: 803C50FF 00000100
	s_cmp_lt_u32 s60, s81                                      // 000000005264: BF0A513C
	s_cselect_b32 s58, s58, 0                                  // 000000005268: 853A803A
	v_mfma_f32_16x16x32_fp8_fp8 v[156:159], a[116:117], a[52:53], v[156:159]// 00000000526C: D3F3009C 1E726974
	s_add_u32 s60, 0x100, s80                                  // 000000005274: 803C50FF 00000100
	s_cmp_lt_u32 s60, s81                                      // 00000000527C: BF0A513C
	s_cselect_b32 s83, s83, 0                                  // 000000005280: 85538053
	v_mfma_f32_16x16x32_fp8_fp8 v[156:159], a[118:119], a[54:55], v[156:159]// 000000005284: D3F3009C 1E726D76
	s_add_u32 s24, s58, s24                                    // 00000000528C: 8018183A
	s_addc_u32 s25, 0, s25                                     // 000000005290: 82191980
	v_mfma_f32_16x16x32_fp8_fp8 v[184:187], a[120:121], a[48:49], v[184:187]// 000000005294: D3F300B8 1EE26178
	s_add_u32 s20, s57, s20                                    // 00000000529C: 80141439
	s_addc_u32 s21, 0, s21                                     // 0000000052A0: 82151580
	v_mfma_f32_16x16x32_fp8_fp8 v[184:187], a[122:123], a[50:51], v[184:187]// 0000000052A4: D3F300B8 1EE2657A
	s_add_u32 s84, s83, s84                                    // 0000000052AC: 80545453
	s_addc_u32 s85, 0, s85                                     // 0000000052B0: 82555580
	v_mfma_f32_16x16x32_fp8_fp8 v[184:187], a[124:125], a[52:53], v[184:187]// 0000000052B4: D3F300B8 1EE2697C
	v_mfma_f32_16x16x32_fp8_fp8 v[184:187], a[126:127], a[54:55], v[184:187]// 0000000052BC: D3F300B8 1EE26D7E
	s_addk_i32 s80, 0x80                                       // 0000000052C4: B7500080
	s_cmp_lt_i32 s80, s81                                      // 0000000052C8: BF045150
	s_cbranch_scc0 label_0B90                                  // 0000000052CC: BF84015C
	s_waitcnt vmcnt(18) lgkmcnt(0)                             // 0000000052D0: BF8C4072
	v_mfma_f32_16x16x32_fp8_fp8 v[76:79], a[128:129], a[56:57], v[76:79]// 0000000052D4: D3F3004C 1D327180
	v_mfma_f32_16x16x32_fp8_fp8 v[76:79], a[130:131], a[58:59], v[76:79]// 0000000052DC: D3F3004C 1D327582
	buffer_load_dwordx4 a[112:115], v72, s[24:27], 0 offen     // 0000000052E4: E05C1000 80867048
	v_mfma_f32_16x16x32_fp8_fp8 v[76:79], a[132:133], a[60:61], v[76:79]// 0000000052EC: D3F3004C 1D327984
	v_mfma_f32_16x16x32_fp8_fp8 v[76:79], a[134:135], a[62:63], v[76:79]// 0000000052F4: D3F3004C 1D327D86
	v_mfma_f32_16x16x32_fp8_fp8 v[104:107], a[136:137], a[56:57], v[104:107]// 0000000052FC: D3F30068 1DA27188
	v_mfma_f32_16x16x32_fp8_fp8 v[104:107], a[138:139], a[58:59], v[104:107]// 000000005304: D3F30068 1DA2758A
	buffer_load_dwordx4 a[116:119], v72, s[24:27], 0 offen offset:1024// 00000000530C: E05C1400 80867448
	v_mfma_f32_16x16x32_fp8_fp8 v[104:107], a[140:141], a[60:61], v[104:107]// 000000005314: D3F30068 1DA2798C
	v_mfma_f32_16x16x32_fp8_fp8 v[104:107], a[142:143], a[62:63], v[104:107]// 00000000531C: D3F30068 1DA27D8E
	v_mfma_f32_16x16x32_fp8_fp8 v[80:83], a[128:129], a[64:65], v[80:83]// 000000005324: D3F30050 1D428180
	v_mfma_f32_16x16x32_fp8_fp8 v[80:83], a[130:131], a[66:67], v[80:83]// 00000000532C: D3F30050 1D428582
	buffer_load_dwordx4 a[120:123], v73, s[24:27], 0 offen     // 000000005334: E05C1000 80867849
	v_mfma_f32_16x16x32_fp8_fp8 v[80:83], a[132:133], a[68:69], v[80:83]// 00000000533C: D3F30050 1D428984
	v_mfma_f32_16x16x32_fp8_fp8 v[80:83], a[134:135], a[70:71], v[80:83]// 000000005344: D3F30050 1D428D86
	v_mfma_f32_16x16x32_fp8_fp8 v[108:111], a[136:137], a[64:65], v[108:111]// 00000000534C: D3F3006C 1DB28188
	v_mfma_f32_16x16x32_fp8_fp8 v[108:111], a[138:139], a[66:67], v[108:111]// 000000005354: D3F3006C 1DB2858A
	buffer_load_dwordx4 a[124:127], v73, s[24:27], 0 offen offset:1024// 00000000535C: E05C1400 80867C49
	buffer_load_dword v58, s[20:23], 0 offen lds               // 000000005364: E0511000 8005003A
	s_add_u32 m0, 0x100, s49                                   // 00000000536C: 807C31FF 00000100
	v_mfma_f32_16x16x32_fp8_fp8 v[108:111], a[140:141], a[68:69], v[108:111]// 000000005374: D3F3006C 1DB2898C
	v_mfma_f32_16x16x32_fp8_fp8 v[108:111], a[142:143], a[70:71], v[108:111]// 00000000537C: D3F3006C 1DB28D8E
	buffer_load_dword v59, s[20:23], 0 offen lds               // 000000005384: E0511000 8005003B
	s_add_u32 m0, 0x200, s49                                   // 00000000538C: 807C31FF 00000200
	v_mfma_f32_16x16x32_fp8_fp8 v[84:87], a[128:129], a[72:73], v[84:87]// 000000005394: D3F30054 1D529180
	v_mfma_f32_16x16x32_fp8_fp8 v[84:87], a[130:131], a[74:75], v[84:87]// 00000000539C: D3F30054 1D529582
	buffer_load_dword v60, s[20:23], 0 offen lds               // 0000000053A4: E0511000 8005003C
	s_add_u32 m0, 0x300, s49                                   // 0000000053AC: 807C31FF 00000300
	v_mfma_f32_16x16x32_fp8_fp8 v[84:87], a[132:133], a[76:77], v[84:87]// 0000000053B4: D3F30054 1D529984
	v_mfma_f32_16x16x32_fp8_fp8 v[84:87], a[134:135], a[78:79], v[84:87]// 0000000053BC: D3F30054 1D529D86
	buffer_load_dword v61, s[20:23], 0 offen lds               // 0000000053C4: E0511000 8005003D
	s_add_u32 m0, 0x400, s49                                   // 0000000053CC: 807C31FF 00000400
	v_mfma_f32_16x16x32_fp8_fp8 v[112:115], a[136:137], a[72:73], v[112:115]// 0000000053D4: D3F30070 1DC29188
	v_mfma_f32_16x16x32_fp8_fp8 v[112:115], a[138:139], a[74:75], v[112:115]// 0000000053DC: D3F30070 1DC2958A
	buffer_load_dword v62, s[20:23], 0 offen lds               // 0000000053E4: E0511000 8005003E
	s_add_u32 m0, 0x500, s49                                   // 0000000053EC: 807C31FF 00000500
	v_mfma_f32_16x16x32_fp8_fp8 v[112:115], a[140:141], a[76:77], v[112:115]// 0000000053F4: D3F30070 1DC2998C
	v_mfma_f32_16x16x32_fp8_fp8 v[112:115], a[142:143], a[78:79], v[112:115]// 0000000053FC: D3F30070 1DC29D8E
	buffer_load_dword v63, s[20:23], 0 offen lds               // 000000005404: E0511000 8005003F
	s_add_u32 m0, 0x600, s49                                   // 00000000540C: 807C31FF 00000600
	v_mfma_f32_16x16x32_fp8_fp8 v[88:91], a[128:129], a[80:81], v[88:91]// 000000005414: D3F30058 1D62A180
	v_mfma_f32_16x16x32_fp8_fp8 v[88:91], a[130:131], a[82:83], v[88:91]// 00000000541C: D3F30058 1D62A582
	buffer_load_dword v64, s[20:23], 0 offen lds               // 000000005424: E0511000 80050040
	s_add_u32 m0, 0x700, s49                                   // 00000000542C: 807C31FF 00000700
	v_mfma_f32_16x16x32_fp8_fp8 v[88:91], a[132:133], a[84:85], v[88:91]// 000000005434: D3F30058 1D62A984
	v_mfma_f32_16x16x32_fp8_fp8 v[88:91], a[134:135], a[86:87], v[88:91]// 00000000543C: D3F30058 1D62AD86
	buffer_load_dword v65, s[20:23], 0 offen lds               // 000000005444: E0511000 80050041
	s_add_u32 m0, 0x800, s49                                   // 00000000544C: 807C31FF 00000800
	v_mfma_f32_16x16x32_fp8_fp8 v[116:119], a[136:137], a[80:81], v[116:119]// 000000005454: D3F30074 1DD2A188
	v_mfma_f32_16x16x32_fp8_fp8 v[116:119], a[138:139], a[82:83], v[116:119]// 00000000545C: D3F30074 1DD2A58A
	buffer_load_dword v66, s[20:23], 0 offen lds               // 000000005464: E0511000 80050042
	s_add_u32 m0, 0x900, s49                                   // 00000000546C: 807C31FF 00000900
	v_mfma_f32_16x16x32_fp8_fp8 v[116:119], a[140:141], a[84:85], v[116:119]// 000000005474: D3F30074 1DD2A98C
	v_mfma_f32_16x16x32_fp8_fp8 v[116:119], a[142:143], a[86:87], v[116:119]// 00000000547C: D3F30074 1DD2AD8E
	buffer_load_dword v67, s[20:23], 0 offen lds               // 000000005484: E0511000 80050043
	s_add_u32 m0, 0xa00, s49                                   // 00000000548C: 807C31FF 00000A00
	v_mfma_f32_16x16x32_fp8_fp8 v[92:95], a[128:129], a[88:89], v[92:95]// 000000005494: D3F3005C 1D72B180
	v_mfma_f32_16x16x32_fp8_fp8 v[92:95], a[130:131], a[90:91], v[92:95]// 00000000549C: D3F3005C 1D72B582
	buffer_load_dword v68, s[20:23], 0 offen lds               // 0000000054A4: E0511000 80050044
	s_add_u32 m0, 0xb00, s49                                   // 0000000054AC: 807C31FF 00000B00
	v_mfma_f32_16x16x32_fp8_fp8 v[92:95], a[132:133], a[92:93], v[92:95]// 0000000054B4: D3F3005C 1D72B984
	v_mfma_f32_16x16x32_fp8_fp8 v[92:95], a[134:135], a[94:95], v[92:95]// 0000000054BC: D3F3005C 1D72BD86
	buffer_load_dword v69, s[20:23], 0 offen lds               // 0000000054C4: E0511000 80050045
	s_add_u32 m0, 0xc00, s49                                   // 0000000054CC: 807C31FF 00000C00
	v_mfma_f32_16x16x32_fp8_fp8 v[120:123], a[136:137], a[88:89], v[120:123]// 0000000054D4: D3F30078 1DE2B188
	v_mfma_f32_16x16x32_fp8_fp8 v[120:123], a[138:139], a[90:91], v[120:123]// 0000000054DC: D3F30078 1DE2B58A
	buffer_load_dword v70, s[20:23], 0 offen lds               // 0000000054E4: E0511000 80050046
	s_add_u32 m0, 0xd00, s49                                   // 0000000054EC: 807C31FF 00000D00
	v_mfma_f32_16x16x32_fp8_fp8 v[120:123], a[140:141], a[92:93], v[120:123]// 0000000054F4: D3F30078 1DE2B98C
	v_mfma_f32_16x16x32_fp8_fp8 v[120:123], a[142:143], a[94:95], v[120:123]// 0000000054FC: D3F30078 1DE2BD8E
	buffer_load_dword v71, s[20:23], 0 offen lds               // 000000005504: E0511000 80050047
	s_add_u32 m0, 0, s50                                       // 00000000550C: 807C3280
	v_mfma_f32_16x16x32_fp8_fp8 v[96:99], a[128:129], a[96:97], v[96:99]// 000000005510: D3F30060 1D82C180
	v_mfma_f32_16x16x32_fp8_fp8 v[96:99], a[130:131], a[98:99], v[96:99]// 000000005518: D3F30060 1D82C582
	v_mfma_f32_16x16x32_fp8_fp8 v[96:99], a[132:133], a[100:101], v[96:99]// 000000005520: D3F30060 1D82C984
	v_mfma_f32_16x16x32_fp8_fp8 v[96:99], a[134:135], a[102:103], v[96:99]// 000000005528: D3F30060 1D82CD86
	v_mfma_f32_16x16x32_fp8_fp8 v[124:127], a[136:137], a[96:97], v[124:127]// 000000005530: D3F3007C 1DF2C188
	v_mfma_f32_16x16x32_fp8_fp8 v[124:127], a[138:139], a[98:99], v[124:127]// 000000005538: D3F3007C 1DF2C58A
	v_mfma_f32_16x16x32_fp8_fp8 v[124:127], a[140:141], a[100:101], v[124:127]// 000000005540: D3F3007C 1DF2C98C
	v_mfma_f32_16x16x32_fp8_fp8 v[124:127], a[142:143], a[102:103], v[124:127]// 000000005548: D3F3007C 1DF2CD8E
	v_mfma_f32_16x16x32_fp8_fp8 v[100:103], a[128:129], a[104:105], v[100:103]// 000000005550: D3F30064 1D92D180
	v_mfma_f32_16x16x32_fp8_fp8 v[100:103], a[130:131], a[106:107], v[100:103]// 000000005558: D3F30064 1D92D582
	v_mfma_f32_16x16x32_fp8_fp8 v[100:103], a[132:133], a[108:109], v[100:103]// 000000005560: D3F30064 1D92D984
	v_mfma_f32_16x16x32_fp8_fp8 v[100:103], a[134:135], a[110:111], v[100:103]// 000000005568: D3F30064 1D92DD86
	v_mfma_f32_16x16x32_fp8_fp8 v[128:131], a[136:137], a[104:105], v[128:131]// 000000005570: D3F30080 1E02D188
	v_mfma_f32_16x16x32_fp8_fp8 v[128:131], a[138:139], a[106:107], v[128:131]// 000000005578: D3F30080 1E02D58A
	v_mfma_f32_16x16x32_fp8_fp8 v[128:131], a[140:141], a[108:109], v[128:131]// 000000005580: D3F30080 1E02D98C
	v_mfma_f32_16x16x32_fp8_fp8 v[128:131], a[142:143], a[110:111], v[128:131]// 000000005588: D3F30080 1E02DD8E
	s_waitcnt vmcnt(18)                                        // 000000005590: BF8C4F72
	s_barrier                                                  // 000000005594: BF8A0000
	v_mfma_f32_16x16x32_fp8_fp8 v[132:135], a[144:145], a[56:57], v[132:135]// 000000005598: D3F30084 1E127190
	v_mfma_f32_16x16x32_fp8_fp8 v[132:135], a[146:147], a[58:59], v[132:135]// 0000000055A0: D3F30084 1E127592
	buffer_load_dwordx4 a[128:131], v72, s[84:87], 0 offen     // 0000000055A8: E05C1000 80958048
	v_mfma_f32_16x16x32_fp8_fp8 v[132:135], a[148:149], a[60:61], v[132:135]// 0000000055B0: D3F30084 1E127994
	v_mfma_f32_16x16x32_fp8_fp8 v[132:135], a[150:151], a[62:63], v[132:135]// 0000000055B8: D3F30084 1E127D96
	ds_read_b128 a[0:3], v2                                    // 0000000055C0: DBFE0000 00000002
	ds_read_b128 a[4:7], v2 offset:64                          // 0000000055C8: DBFE0040 04000002
	v_mfma_f32_16x16x32_fp8_fp8 v[160:163], a[152:153], a[56:57], v[160:163]// 0000000055D0: D3F300A0 1E827198
	v_mfma_f32_16x16x32_fp8_fp8 v[160:163], a[154:155], a[58:59], v[160:163]// 0000000055D8: D3F300A0 1E82759A
	buffer_load_dwordx4 a[132:135], v72, s[84:87], 0 offen offset:1024// 0000000055E0: E05C1400 80958448
	v_mfma_f32_16x16x32_fp8_fp8 v[160:163], a[156:157], a[60:61], v[160:163]// 0000000055E8: D3F300A0 1E82799C
	v_mfma_f32_16x16x32_fp8_fp8 v[160:163], a[158:159], a[62:63], v[160:163]// 0000000055F0: D3F300A0 1E827D9E
	ds_read_b128 a[8:11], v2 offset:512                        // 0000000055F8: DBFE0200 08000002
	ds_read_b128 a[12:15], v2 offset:576                       // 000000005600: DBFE0240 0C000002
	v_mfma_f32_16x16x32_fp8_fp8 v[136:139], a[144:145], a[64:65], v[136:139]// 000000005608: D3F30088 1E228190
	v_mfma_f32_16x16x32_fp8_fp8 v[136:139], a[146:147], a[66:67], v[136:139]// 000000005610: D3F30088 1E228592
	buffer_load_dwordx4 a[136:139], v73, s[84:87], 0 offen     // 000000005618: E05C1000 80958849
	v_mfma_f32_16x16x32_fp8_fp8 v[136:139], a[148:149], a[68:69], v[136:139]// 000000005620: D3F30088 1E228994
	v_mfma_f32_16x16x32_fp8_fp8 v[136:139], a[150:151], a[70:71], v[136:139]// 000000005628: D3F30088 1E228D96
	ds_read_b128 a[16:19], v2 offset:1024                      // 000000005630: DBFE0400 10000002
	ds_read_b128 a[20:23], v2 offset:1088                      // 000000005638: DBFE0440 14000002
	v_mfma_f32_16x16x32_fp8_fp8 v[164:167], a[152:153], a[64:65], v[164:167]// 000000005640: D3F300A4 1E928198
	v_mfma_f32_16x16x32_fp8_fp8 v[164:167], a[154:155], a[66:67], v[164:167]// 000000005648: D3F300A4 1E92859A
	buffer_load_dwordx4 a[140:143], v73, s[84:87], 0 offen offset:1024// 000000005650: E05C1400 80958C49
	v_mfma_f32_16x16x32_fp8_fp8 v[164:167], a[156:157], a[68:69], v[164:167]// 000000005658: D3F300A4 1E92899C
	v_mfma_f32_16x16x32_fp8_fp8 v[164:167], a[158:159], a[70:71], v[164:167]// 000000005660: D3F300A4 1E928D9E
	ds_read_b128 a[24:27], v2 offset:1536                      // 000000005668: DBFE0600 18000002
	ds_read_b128 a[28:31], v2 offset:1600                      // 000000005670: DBFE0640 1C000002
	v_mfma_f32_16x16x32_fp8_fp8 v[140:143], a[144:145], a[72:73], v[140:143]// 000000005678: D3F3008C 1E329190
	v_mfma_f32_16x16x32_fp8_fp8 v[140:143], a[146:147], a[74:75], v[140:143]// 000000005680: D3F3008C 1E329592
	v_mfma_f32_16x16x32_fp8_fp8 v[140:143], a[148:149], a[76:77], v[140:143]// 000000005688: D3F3008C 1E329994
	v_mfma_f32_16x16x32_fp8_fp8 v[140:143], a[150:151], a[78:79], v[140:143]// 000000005690: D3F3008C 1E329D96
	ds_read_b128 a[32:35], v2 offset:2048                      // 000000005698: DBFE0800 20000002
	ds_read_b128 a[36:39], v2 offset:2112                      // 0000000056A0: DBFE0840 24000002
	v_mfma_f32_16x16x32_fp8_fp8 v[168:171], a[152:153], a[72:73], v[168:171]// 0000000056A8: D3F300A8 1EA29198
	v_mfma_f32_16x16x32_fp8_fp8 v[168:171], a[154:155], a[74:75], v[168:171]// 0000000056B0: D3F300A8 1EA2959A
	v_mfma_f32_16x16x32_fp8_fp8 v[168:171], a[156:157], a[76:77], v[168:171]// 0000000056B8: D3F300A8 1EA2999C
	v_mfma_f32_16x16x32_fp8_fp8 v[168:171], a[158:159], a[78:79], v[168:171]// 0000000056C0: D3F300A8 1EA29D9E
	ds_read_b128 a[40:43], v2 offset:2560                      // 0000000056C8: DBFE0A00 28000002
	ds_read_b128 a[44:47], v2 offset:2624                      // 0000000056D0: DBFE0A40 2C000002
	v_mfma_f32_16x16x32_fp8_fp8 v[144:147], a[144:145], a[80:81], v[144:147]// 0000000056D8: D3F30090 1E42A190
	v_mfma_f32_16x16x32_fp8_fp8 v[144:147], a[146:147], a[82:83], v[144:147]// 0000000056E0: D3F30090 1E42A592
	v_mfma_f32_16x16x32_fp8_fp8 v[144:147], a[148:149], a[84:85], v[144:147]// 0000000056E8: D3F30090 1E42A994
	v_mfma_f32_16x16x32_fp8_fp8 v[144:147], a[150:151], a[86:87], v[144:147]// 0000000056F0: D3F30090 1E42AD96
	ds_read_b128 a[48:51], v2 offset:3072                      // 0000000056F8: DBFE0C00 30000002
	ds_read_b128 a[52:55], v2 offset:3136                      // 000000005700: DBFE0C40 34000002
	v_mfma_f32_16x16x32_fp8_fp8 v[172:175], a[152:153], a[80:81], v[172:175]// 000000005708: D3F300AC 1EB2A198
	v_mfma_f32_16x16x32_fp8_fp8 v[172:175], a[154:155], a[82:83], v[172:175]// 000000005710: D3F300AC 1EB2A59A
	v_mfma_f32_16x16x32_fp8_fp8 v[172:175], a[156:157], a[84:85], v[172:175]// 000000005718: D3F300AC 1EB2A99C
	v_mfma_f32_16x16x32_fp8_fp8 v[172:175], a[158:159], a[86:87], v[172:175]// 000000005720: D3F300AC 1EB2AD9E
	v_mfma_f32_16x16x32_fp8_fp8 v[148:151], a[144:145], a[88:89], v[148:151]// 000000005728: D3F30094 1E52B190
	v_mfma_f32_16x16x32_fp8_fp8 v[148:151], a[146:147], a[90:91], v[148:151]// 000000005730: D3F30094 1E52B592
	v_mfma_f32_16x16x32_fp8_fp8 v[148:151], a[148:149], a[92:93], v[148:151]// 000000005738: D3F30094 1E52B994
	v_mfma_f32_16x16x32_fp8_fp8 v[148:151], a[150:151], a[94:95], v[148:151]// 000000005740: D3F30094 1E52BD96
	v_mfma_f32_16x16x32_fp8_fp8 v[176:179], a[152:153], a[88:89], v[176:179]// 000000005748: D3F300B0 1EC2B198
	v_mfma_f32_16x16x32_fp8_fp8 v[176:179], a[154:155], a[90:91], v[176:179]// 000000005750: D3F300B0 1EC2B59A
	v_mfma_f32_16x16x32_fp8_fp8 v[176:179], a[156:157], a[92:93], v[176:179]// 000000005758: D3F300B0 1EC2B99C
	v_mfma_f32_16x16x32_fp8_fp8 v[176:179], a[158:159], a[94:95], v[176:179]// 000000005760: D3F300B0 1EC2BD9E
	v_mfma_f32_16x16x32_fp8_fp8 v[152:155], a[144:145], a[96:97], v[152:155]// 000000005768: D3F30098 1E62C190
	v_mfma_f32_16x16x32_fp8_fp8 v[152:155], a[146:147], a[98:99], v[152:155]// 000000005770: D3F30098 1E62C592
	v_mfma_f32_16x16x32_fp8_fp8 v[152:155], a[148:149], a[100:101], v[152:155]// 000000005778: D3F30098 1E62C994
	v_mfma_f32_16x16x32_fp8_fp8 v[152:155], a[150:151], a[102:103], v[152:155]// 000000005780: D3F30098 1E62CD96
	v_mfma_f32_16x16x32_fp8_fp8 v[180:183], a[152:153], a[96:97], v[180:183]// 000000005788: D3F300B4 1ED2C198
	v_mfma_f32_16x16x32_fp8_fp8 v[180:183], a[154:155], a[98:99], v[180:183]// 000000005790: D3F300B4 1ED2C59A
	v_mfma_f32_16x16x32_fp8_fp8 v[180:183], a[156:157], a[100:101], v[180:183]// 000000005798: D3F300B4 1ED2C99C
	v_mfma_f32_16x16x32_fp8_fp8 v[180:183], a[158:159], a[102:103], v[180:183]// 0000000057A0: D3F300B4 1ED2CD9E
	v_mfma_f32_16x16x32_fp8_fp8 v[156:159], a[144:145], a[104:105], v[156:159]// 0000000057A8: D3F3009C 1E72D190
	s_add_u32 s60, 0x180, s80                                  // 0000000057B0: 803C50FF 00000180
	s_cmp_lt_u32 s60, s81                                      // 0000000057B8: BF0A513C
	s_cselect_b32 s57, s57, 0                                  // 0000000057BC: 85398039
	v_mfma_f32_16x16x32_fp8_fp8 v[156:159], a[146:147], a[106:107], v[156:159]// 0000000057C0: D3F3009C 1E72D592
	s_add_u32 s60, 0x100, s80                                  // 0000000057C8: 803C50FF 00000100
	s_cmp_lt_u32 s60, s81                                      // 0000000057D0: BF0A513C
	s_cselect_b32 s58, s58, 0                                  // 0000000057D4: 853A803A
	v_mfma_f32_16x16x32_fp8_fp8 v[156:159], a[148:149], a[108:109], v[156:159]// 0000000057D8: D3F3009C 1E72D994
	s_add_u32 s60, 0x100, s80                                  // 0000000057E0: 803C50FF 00000100
	s_cmp_lt_u32 s60, s81                                      // 0000000057E8: BF0A513C
	s_cselect_b32 s83, s83, 0                                  // 0000000057EC: 85538053
	v_mfma_f32_16x16x32_fp8_fp8 v[156:159], a[150:151], a[110:111], v[156:159]// 0000000057F0: D3F3009C 1E72DD96
	s_add_u32 s24, s58, s24                                    // 0000000057F8: 8018183A
	s_addc_u32 s25, 0, s25                                     // 0000000057FC: 82191980
	v_mfma_f32_16x16x32_fp8_fp8 v[184:187], a[152:153], a[104:105], v[184:187]// 000000005800: D3F300B8 1EE2D198
	s_add_u32 s20, s57, s20                                    // 000000005808: 80141439
	s_addc_u32 s21, 0, s21                                     // 00000000580C: 82151580
	v_mfma_f32_16x16x32_fp8_fp8 v[184:187], a[154:155], a[106:107], v[184:187]// 000000005810: D3F300B8 1EE2D59A
	s_add_u32 s84, s83, s84                                    // 000000005818: 80545453
	s_addc_u32 s85, 0, s85                                     // 00000000581C: 82555580
	v_mfma_f32_16x16x32_fp8_fp8 v[184:187], a[156:157], a[108:109], v[184:187]// 000000005820: D3F300B8 1EE2D99C
	v_mfma_f32_16x16x32_fp8_fp8 v[184:187], a[158:159], a[110:111], v[184:187]// 000000005828: D3F300B8 1EE2DD9E
	s_addk_i32 s80, 0x80                                       // 000000005830: B7500080
	s_cmp_lt_i32 s80, s81                                      // 000000005834: BF045150
	s_cbranch_scc0 label_0B90                                  // 000000005838: BF840001
	s_branch label_036D                                        // 00000000583C: BF82F7DD

0000000000005840 <label_0B90>:
	v_mul_f32_dpp v76, v24, v76 row_newbcast:0 row_mask:0xf bank_mask:0xf// 000000005840: 0A9898FA FF015018
	v_mul_f32_dpp v77, v24, v77 row_newbcast:1 row_mask:0xf bank_mask:0xf// 000000005848: 0A9A9AFA FF015118
	v_mul_f32_dpp v78, v24, v78 row_newbcast:2 row_mask:0xf bank_mask:0xf// 000000005850: 0A9C9CFA FF015218
	v_mul_f32_dpp v79, v24, v79 row_newbcast:3 row_mask:0xf bank_mask:0xf// 000000005858: 0A9E9EFA FF015318
	v_mul_f32_dpp v80, v24, v80 row_newbcast:0 row_mask:0xf bank_mask:0xf// 000000005860: 0AA0A0FA FF015018
	v_mul_f32_dpp v81, v24, v81 row_newbcast:1 row_mask:0xf bank_mask:0xf// 000000005868: 0AA2A2FA FF015118
	v_mul_f32_dpp v82, v24, v82 row_newbcast:2 row_mask:0xf bank_mask:0xf// 000000005870: 0AA4A4FA FF015218
	v_mul_f32_dpp v83, v24, v83 row_newbcast:3 row_mask:0xf bank_mask:0xf// 000000005878: 0AA6A6FA FF015318
	v_mul_f32_dpp v84, v24, v84 row_newbcast:0 row_mask:0xf bank_mask:0xf// 000000005880: 0AA8A8FA FF015018
	v_mul_f32_dpp v85, v24, v85 row_newbcast:1 row_mask:0xf bank_mask:0xf// 000000005888: 0AAAAAFA FF015118
	v_mul_f32_dpp v86, v24, v86 row_newbcast:2 row_mask:0xf bank_mask:0xf// 000000005890: 0AACACFA FF015218
	v_mul_f32_dpp v87, v24, v87 row_newbcast:3 row_mask:0xf bank_mask:0xf// 000000005898: 0AAEAEFA FF015318
	v_mul_f32_dpp v88, v24, v88 row_newbcast:0 row_mask:0xf bank_mask:0xf// 0000000058A0: 0AB0B0FA FF015018
	v_mul_f32_dpp v89, v24, v89 row_newbcast:1 row_mask:0xf bank_mask:0xf// 0000000058A8: 0AB2B2FA FF015118
	v_mul_f32_dpp v90, v24, v90 row_newbcast:2 row_mask:0xf bank_mask:0xf// 0000000058B0: 0AB4B4FA FF015218
	v_mul_f32_dpp v91, v24, v91 row_newbcast:3 row_mask:0xf bank_mask:0xf// 0000000058B8: 0AB6B6FA FF015318
	v_mul_f32_dpp v92, v24, v92 row_newbcast:0 row_mask:0xf bank_mask:0xf// 0000000058C0: 0AB8B8FA FF015018
	v_mul_f32_dpp v93, v24, v93 row_newbcast:1 row_mask:0xf bank_mask:0xf// 0000000058C8: 0ABABAFA FF015118
	v_mul_f32_dpp v94, v24, v94 row_newbcast:2 row_mask:0xf bank_mask:0xf// 0000000058D0: 0ABCBCFA FF015218
	v_mul_f32_dpp v95, v24, v95 row_newbcast:3 row_mask:0xf bank_mask:0xf// 0000000058D8: 0ABEBEFA FF015318
	v_mul_f32_dpp v96, v24, v96 row_newbcast:0 row_mask:0xf bank_mask:0xf// 0000000058E0: 0AC0C0FA FF015018
	v_mul_f32_dpp v97, v24, v97 row_newbcast:1 row_mask:0xf bank_mask:0xf// 0000000058E8: 0AC2C2FA FF015118
	v_mul_f32_dpp v98, v24, v98 row_newbcast:2 row_mask:0xf bank_mask:0xf// 0000000058F0: 0AC4C4FA FF015218
	v_mul_f32_dpp v99, v24, v99 row_newbcast:3 row_mask:0xf bank_mask:0xf// 0000000058F8: 0AC6C6FA FF015318
	v_mul_f32_dpp v100, v24, v100 row_newbcast:0 row_mask:0xf bank_mask:0xf// 000000005900: 0AC8C8FA FF015018
	v_mul_f32_dpp v101, v24, v101 row_newbcast:1 row_mask:0xf bank_mask:0xf// 000000005908: 0ACACAFA FF015118
	v_mul_f32_dpp v102, v24, v102 row_newbcast:2 row_mask:0xf bank_mask:0xf// 000000005910: 0ACCCCFA FF015218
	v_mul_f32_dpp v103, v24, v103 row_newbcast:3 row_mask:0xf bank_mask:0xf// 000000005918: 0ACECEFA FF015318
	v_mul_f32_dpp v104, v24, v104 row_newbcast:4 row_mask:0xf bank_mask:0xf// 000000005920: 0AD0D0FA FF015418
	v_mul_f32_dpp v105, v24, v105 row_newbcast:5 row_mask:0xf bank_mask:0xf// 000000005928: 0AD2D2FA FF015518
	v_mul_f32_dpp v106, v24, v106 row_newbcast:6 row_mask:0xf bank_mask:0xf// 000000005930: 0AD4D4FA FF015618
	v_mul_f32_dpp v107, v24, v107 row_newbcast:7 row_mask:0xf bank_mask:0xf// 000000005938: 0AD6D6FA FF015718
	v_mul_f32_dpp v108, v24, v108 row_newbcast:4 row_mask:0xf bank_mask:0xf// 000000005940: 0AD8D8FA FF015418
	v_mul_f32_dpp v109, v24, v109 row_newbcast:5 row_mask:0xf bank_mask:0xf// 000000005948: 0ADADAFA FF015518
	v_mul_f32_dpp v110, v24, v110 row_newbcast:6 row_mask:0xf bank_mask:0xf// 000000005950: 0ADCDCFA FF015618
	v_mul_f32_dpp v111, v24, v111 row_newbcast:7 row_mask:0xf bank_mask:0xf// 000000005958: 0ADEDEFA FF015718
	v_mul_f32_dpp v112, v24, v112 row_newbcast:4 row_mask:0xf bank_mask:0xf// 000000005960: 0AE0E0FA FF015418
	v_mul_f32_dpp v113, v24, v113 row_newbcast:5 row_mask:0xf bank_mask:0xf// 000000005968: 0AE2E2FA FF015518
	v_mul_f32_dpp v114, v24, v114 row_newbcast:6 row_mask:0xf bank_mask:0xf// 000000005970: 0AE4E4FA FF015618
	v_mul_f32_dpp v115, v24, v115 row_newbcast:7 row_mask:0xf bank_mask:0xf// 000000005978: 0AE6E6FA FF015718
	v_mul_f32_dpp v116, v24, v116 row_newbcast:4 row_mask:0xf bank_mask:0xf// 000000005980: 0AE8E8FA FF015418
	v_mul_f32_dpp v117, v24, v117 row_newbcast:5 row_mask:0xf bank_mask:0xf// 000000005988: 0AEAEAFA FF015518
	v_mul_f32_dpp v118, v24, v118 row_newbcast:6 row_mask:0xf bank_mask:0xf// 000000005990: 0AECECFA FF015618
	v_mul_f32_dpp v119, v24, v119 row_newbcast:7 row_mask:0xf bank_mask:0xf// 000000005998: 0AEEEEFA FF015718
	v_mul_f32_dpp v120, v24, v120 row_newbcast:4 row_mask:0xf bank_mask:0xf// 0000000059A0: 0AF0F0FA FF015418
	v_mul_f32_dpp v121, v24, v121 row_newbcast:5 row_mask:0xf bank_mask:0xf// 0000000059A8: 0AF2F2FA FF015518
	v_mul_f32_dpp v122, v24, v122 row_newbcast:6 row_mask:0xf bank_mask:0xf// 0000000059B0: 0AF4F4FA FF015618
	v_mul_f32_dpp v123, v24, v123 row_newbcast:7 row_mask:0xf bank_mask:0xf// 0000000059B8: 0AF6F6FA FF015718
	v_mul_f32_dpp v124, v24, v124 row_newbcast:4 row_mask:0xf bank_mask:0xf// 0000000059C0: 0AF8F8FA FF015418
	v_mul_f32_dpp v125, v24, v125 row_newbcast:5 row_mask:0xf bank_mask:0xf// 0000000059C8: 0AFAFAFA FF015518
	v_mul_f32_dpp v126, v24, v126 row_newbcast:6 row_mask:0xf bank_mask:0xf// 0000000059D0: 0AFCFCFA FF015618
	v_mul_f32_dpp v127, v24, v127 row_newbcast:7 row_mask:0xf bank_mask:0xf// 0000000059D8: 0AFEFEFA FF015718
	v_mul_f32_dpp v128, v24, v128 row_newbcast:4 row_mask:0xf bank_mask:0xf// 0000000059E0: 0B0100FA FF015418
	v_mul_f32_dpp v129, v24, v129 row_newbcast:5 row_mask:0xf bank_mask:0xf// 0000000059E8: 0B0302FA FF015518
	v_mul_f32_dpp v130, v24, v130 row_newbcast:6 row_mask:0xf bank_mask:0xf// 0000000059F0: 0B0504FA FF015618
	v_mul_f32_dpp v131, v24, v131 row_newbcast:7 row_mask:0xf bank_mask:0xf// 0000000059F8: 0B0706FA FF015718
	v_mul_f32_dpp v132, v27, v132 row_newbcast:0 row_mask:0xf bank_mask:0xf// 000000005A00: 0B0908FA FF01501B
	v_mul_f32_dpp v133, v27, v133 row_newbcast:1 row_mask:0xf bank_mask:0xf// 000000005A08: 0B0B0AFA FF01511B
	v_mul_f32_dpp v134, v27, v134 row_newbcast:2 row_mask:0xf bank_mask:0xf// 000000005A10: 0B0D0CFA FF01521B
	v_mul_f32_dpp v135, v27, v135 row_newbcast:3 row_mask:0xf bank_mask:0xf// 000000005A18: 0B0F0EFA FF01531B
	v_mul_f32_dpp v136, v27, v136 row_newbcast:0 row_mask:0xf bank_mask:0xf// 000000005A20: 0B1110FA FF01501B
	v_mul_f32_dpp v137, v27, v137 row_newbcast:1 row_mask:0xf bank_mask:0xf// 000000005A28: 0B1312FA FF01511B
	v_mul_f32_dpp v138, v27, v138 row_newbcast:2 row_mask:0xf bank_mask:0xf// 000000005A30: 0B1514FA FF01521B
	v_mul_f32_dpp v139, v27, v139 row_newbcast:3 row_mask:0xf bank_mask:0xf// 000000005A38: 0B1716FA FF01531B
	v_mul_f32_dpp v140, v27, v140 row_newbcast:0 row_mask:0xf bank_mask:0xf// 000000005A40: 0B1918FA FF01501B
	v_mul_f32_dpp v141, v27, v141 row_newbcast:1 row_mask:0xf bank_mask:0xf// 000000005A48: 0B1B1AFA FF01511B
	v_mul_f32_dpp v142, v27, v142 row_newbcast:2 row_mask:0xf bank_mask:0xf// 000000005A50: 0B1D1CFA FF01521B
	v_mul_f32_dpp v143, v27, v143 row_newbcast:3 row_mask:0xf bank_mask:0xf// 000000005A58: 0B1F1EFA FF01531B
	v_mul_f32_dpp v144, v27, v144 row_newbcast:0 row_mask:0xf bank_mask:0xf// 000000005A60: 0B2120FA FF01501B
	v_mul_f32_dpp v145, v27, v145 row_newbcast:1 row_mask:0xf bank_mask:0xf// 000000005A68: 0B2322FA FF01511B
	v_mul_f32_dpp v146, v27, v146 row_newbcast:2 row_mask:0xf bank_mask:0xf// 000000005A70: 0B2524FA FF01521B
	v_mul_f32_dpp v147, v27, v147 row_newbcast:3 row_mask:0xf bank_mask:0xf// 000000005A78: 0B2726FA FF01531B
	v_mul_f32_dpp v148, v27, v148 row_newbcast:0 row_mask:0xf bank_mask:0xf// 000000005A80: 0B2928FA FF01501B
	v_mul_f32_dpp v149, v27, v149 row_newbcast:1 row_mask:0xf bank_mask:0xf// 000000005A88: 0B2B2AFA FF01511B
	v_mul_f32_dpp v150, v27, v150 row_newbcast:2 row_mask:0xf bank_mask:0xf// 000000005A90: 0B2D2CFA FF01521B
	v_mul_f32_dpp v151, v27, v151 row_newbcast:3 row_mask:0xf bank_mask:0xf// 000000005A98: 0B2F2EFA FF01531B
	v_mul_f32_dpp v152, v27, v152 row_newbcast:0 row_mask:0xf bank_mask:0xf// 000000005AA0: 0B3130FA FF01501B
	v_mul_f32_dpp v153, v27, v153 row_newbcast:1 row_mask:0xf bank_mask:0xf// 000000005AA8: 0B3332FA FF01511B
	v_mul_f32_dpp v154, v27, v154 row_newbcast:2 row_mask:0xf bank_mask:0xf// 000000005AB0: 0B3534FA FF01521B
	v_mul_f32_dpp v155, v27, v155 row_newbcast:3 row_mask:0xf bank_mask:0xf// 000000005AB8: 0B3736FA FF01531B
	v_mul_f32_dpp v156, v27, v156 row_newbcast:0 row_mask:0xf bank_mask:0xf// 000000005AC0: 0B3938FA FF01501B
	v_mul_f32_dpp v157, v27, v157 row_newbcast:1 row_mask:0xf bank_mask:0xf// 000000005AC8: 0B3B3AFA FF01511B
	v_mul_f32_dpp v158, v27, v158 row_newbcast:2 row_mask:0xf bank_mask:0xf// 000000005AD0: 0B3D3CFA FF01521B
	v_mul_f32_dpp v159, v27, v159 row_newbcast:3 row_mask:0xf bank_mask:0xf// 000000005AD8: 0B3F3EFA FF01531B
	v_mul_f32_dpp v160, v27, v160 row_newbcast:4 row_mask:0xf bank_mask:0xf// 000000005AE0: 0B4140FA FF01541B
	v_mul_f32_dpp v161, v27, v161 row_newbcast:5 row_mask:0xf bank_mask:0xf// 000000005AE8: 0B4342FA FF01551B
	v_mul_f32_dpp v162, v27, v162 row_newbcast:6 row_mask:0xf bank_mask:0xf// 000000005AF0: 0B4544FA FF01561B
	v_mul_f32_dpp v163, v27, v163 row_newbcast:7 row_mask:0xf bank_mask:0xf// 000000005AF8: 0B4746FA FF01571B
	v_mul_f32_dpp v164, v27, v164 row_newbcast:4 row_mask:0xf bank_mask:0xf// 000000005B00: 0B4948FA FF01541B
	v_mul_f32_dpp v165, v27, v165 row_newbcast:5 row_mask:0xf bank_mask:0xf// 000000005B08: 0B4B4AFA FF01551B
	v_mul_f32_dpp v166, v27, v166 row_newbcast:6 row_mask:0xf bank_mask:0xf// 000000005B10: 0B4D4CFA FF01561B
	v_mul_f32_dpp v167, v27, v167 row_newbcast:7 row_mask:0xf bank_mask:0xf// 000000005B18: 0B4F4EFA FF01571B
	v_mul_f32_dpp v168, v27, v168 row_newbcast:4 row_mask:0xf bank_mask:0xf// 000000005B20: 0B5150FA FF01541B
	v_mul_f32_dpp v169, v27, v169 row_newbcast:5 row_mask:0xf bank_mask:0xf// 000000005B28: 0B5352FA FF01551B
	v_mul_f32_dpp v170, v27, v170 row_newbcast:6 row_mask:0xf bank_mask:0xf// 000000005B30: 0B5554FA FF01561B
	v_mul_f32_dpp v171, v27, v171 row_newbcast:7 row_mask:0xf bank_mask:0xf// 000000005B38: 0B5756FA FF01571B
	v_mul_f32_dpp v172, v27, v172 row_newbcast:4 row_mask:0xf bank_mask:0xf// 000000005B40: 0B5958FA FF01541B
	v_mul_f32_dpp v173, v27, v173 row_newbcast:5 row_mask:0xf bank_mask:0xf// 000000005B48: 0B5B5AFA FF01551B
	v_mul_f32_dpp v174, v27, v174 row_newbcast:6 row_mask:0xf bank_mask:0xf// 000000005B50: 0B5D5CFA FF01561B
	v_mul_f32_dpp v175, v27, v175 row_newbcast:7 row_mask:0xf bank_mask:0xf// 000000005B58: 0B5F5EFA FF01571B
	v_mul_f32_dpp v176, v27, v176 row_newbcast:4 row_mask:0xf bank_mask:0xf// 000000005B60: 0B6160FA FF01541B
	v_mul_f32_dpp v177, v27, v177 row_newbcast:5 row_mask:0xf bank_mask:0xf// 000000005B68: 0B6362FA FF01551B
	v_mul_f32_dpp v178, v27, v178 row_newbcast:6 row_mask:0xf bank_mask:0xf// 000000005B70: 0B6564FA FF01561B
	v_mul_f32_dpp v179, v27, v179 row_newbcast:7 row_mask:0xf bank_mask:0xf// 000000005B78: 0B6766FA FF01571B
	v_mul_f32_dpp v180, v27, v180 row_newbcast:4 row_mask:0xf bank_mask:0xf// 000000005B80: 0B6968FA FF01541B
	v_mul_f32_dpp v181, v27, v181 row_newbcast:5 row_mask:0xf bank_mask:0xf// 000000005B88: 0B6B6AFA FF01551B
	v_mul_f32_dpp v182, v27, v182 row_newbcast:6 row_mask:0xf bank_mask:0xf// 000000005B90: 0B6D6CFA FF01561B
	v_mul_f32_dpp v183, v27, v183 row_newbcast:7 row_mask:0xf bank_mask:0xf// 000000005B98: 0B6F6EFA FF01571B
	v_mul_f32_dpp v184, v27, v184 row_newbcast:4 row_mask:0xf bank_mask:0xf// 000000005BA0: 0B7170FA FF01541B
	v_mul_f32_dpp v185, v27, v185 row_newbcast:5 row_mask:0xf bank_mask:0xf// 000000005BA8: 0B7372FA FF01551B
	v_mul_f32_dpp v186, v27, v186 row_newbcast:6 row_mask:0xf bank_mask:0xf// 000000005BB0: 0B7574FA FF01561B
	v_mul_f32_dpp v187, v27, v187 row_newbcast:7 row_mask:0xf bank_mask:0xf// 000000005BB8: 0B7776FA FF01571B
	v_mul_f32_e32 v37, v37, v188                               // 000000005BC0: 0A4B7925
	v_mov_b32_e32 v4, v37                                      // 000000005BC4: 7E080325
	v_mov_b32_e32 v5, v4                                       // 000000005BC8: 7E0A0304
	v_pk_mul_f32 v[76:77], v[4:5], v[76:77]                    // 000000005BCC: D3B1404C 18029904
	v_pk_mul_f32 v[132:133], v[4:5], v[132:133]                // 000000005BD4: D3B14084 18030904
	v_pk_mul_f32 v[78:79], v[4:5], v[78:79]                    // 000000005BDC: D3B1404E 18029D04
	v_pk_mul_f32 v[134:135], v[4:5], v[134:135]                // 000000005BE4: D3B14086 18030D04
	v_pk_mul_f32 v[104:105], v[4:5], v[104:105]                // 000000005BEC: D3B14068 1802D104
	v_pk_mul_f32 v[160:161], v[4:5], v[160:161]                // 000000005BF4: D3B140A0 18034104
	v_pk_mul_f32 v[106:107], v[4:5], v[106:107]                // 000000005BFC: D3B1406A 1802D504
	v_pk_mul_f32 v[162:163], v[4:5], v[162:163]                // 000000005C04: D3B140A2 18034504
	v_mul_f32_e32 v38, v38, v189                               // 000000005C0C: 0A4D7B26
	v_mov_b32_e32 v4, v38                                      // 000000005C10: 7E080326
	v_mov_b32_e32 v5, v4                                       // 000000005C14: 7E0A0304
	v_pk_mul_f32 v[80:81], v[4:5], v[80:81]                    // 000000005C18: D3B14050 1802A104
	v_pk_mul_f32 v[136:137], v[4:5], v[136:137]                // 000000005C20: D3B14088 18031104
	v_pk_mul_f32 v[82:83], v[4:5], v[82:83]                    // 000000005C28: D3B14052 1802A504
	v_pk_mul_f32 v[138:139], v[4:5], v[138:139]                // 000000005C30: D3B1408A 18031504
	v_pk_mul_f32 v[108:109], v[4:5], v[108:109]                // 000000005C38: D3B1406C 1802D904
	v_pk_mul_f32 v[164:165], v[4:5], v[164:165]                // 000000005C40: D3B140A4 18034904
	v_pk_mul_f32 v[110:111], v[4:5], v[110:111]                // 000000005C48: D3B1406E 1802DD04
	v_pk_mul_f32 v[166:167], v[4:5], v[166:167]                // 000000005C50: D3B140A6 18034D04
	v_mul_f32_e32 v39, v39, v190                               // 000000005C58: 0A4F7D27
	v_mov_b32_e32 v4, v39                                      // 000000005C5C: 7E080327
	v_mov_b32_e32 v5, v4                                       // 000000005C60: 7E0A0304
	v_pk_mul_f32 v[84:85], v[4:5], v[84:85]                    // 000000005C64: D3B14054 1802A904
	v_pk_mul_f32 v[140:141], v[4:5], v[140:141]                // 000000005C6C: D3B1408C 18031904
	v_pk_mul_f32 v[86:87], v[4:5], v[86:87]                    // 000000005C74: D3B14056 1802AD04
	v_pk_mul_f32 v[142:143], v[4:5], v[142:143]                // 000000005C7C: D3B1408E 18031D04
	v_pk_mul_f32 v[112:113], v[4:5], v[112:113]                // 000000005C84: D3B14070 1802E104
	v_pk_mul_f32 v[168:169], v[4:5], v[168:169]                // 000000005C8C: D3B140A8 18035104
	v_pk_mul_f32 v[114:115], v[4:5], v[114:115]                // 000000005C94: D3B14072 1802E504
	v_pk_mul_f32 v[170:171], v[4:5], v[170:171]                // 000000005C9C: D3B140AA 18035504
	v_mul_f32_e32 v40, v40, v191                               // 000000005CA4: 0A517F28
	v_mov_b32_e32 v4, v40                                      // 000000005CA8: 7E080328
	v_mov_b32_e32 v5, v4                                       // 000000005CAC: 7E0A0304
	v_pk_mul_f32 v[88:89], v[4:5], v[88:89]                    // 000000005CB0: D3B14058 1802B104
	v_pk_mul_f32 v[144:145], v[4:5], v[144:145]                // 000000005CB8: D3B14090 18032104
	v_pk_mul_f32 v[90:91], v[4:5], v[90:91]                    // 000000005CC0: D3B1405A 1802B504
	v_pk_mul_f32 v[146:147], v[4:5], v[146:147]                // 000000005CC8: D3B14092 18032504
	v_pk_mul_f32 v[116:117], v[4:5], v[116:117]                // 000000005CD0: D3B14074 1802E904
	v_pk_mul_f32 v[172:173], v[4:5], v[172:173]                // 000000005CD8: D3B140AC 18035904
	v_pk_mul_f32 v[118:119], v[4:5], v[118:119]                // 000000005CE0: D3B14076 1802ED04
	v_pk_mul_f32 v[174:175], v[4:5], v[174:175]                // 000000005CE8: D3B140AE 18035D04
	v_mul_f32_e32 v41, v41, v192                               // 000000005CF0: 0A538129
	v_mov_b32_e32 v4, v41                                      // 000000005CF4: 7E080329
	v_mov_b32_e32 v5, v4                                       // 000000005CF8: 7E0A0304
	v_pk_mul_f32 v[92:93], v[4:5], v[92:93]                    // 000000005CFC: D3B1405C 1802B904
	v_pk_mul_f32 v[148:149], v[4:5], v[148:149]                // 000000005D04: D3B14094 18032904
	v_pk_mul_f32 v[94:95], v[4:5], v[94:95]                    // 000000005D0C: D3B1405E 1802BD04
	v_pk_mul_f32 v[150:151], v[4:5], v[150:151]                // 000000005D14: D3B14096 18032D04
	v_pk_mul_f32 v[120:121], v[4:5], v[120:121]                // 000000005D1C: D3B14078 1802F104
	v_pk_mul_f32 v[176:177], v[4:5], v[176:177]                // 000000005D24: D3B140B0 18036104
	v_pk_mul_f32 v[122:123], v[4:5], v[122:123]                // 000000005D2C: D3B1407A 1802F504
	v_pk_mul_f32 v[178:179], v[4:5], v[178:179]                // 000000005D34: D3B140B2 18036504
	v_mul_f32_e32 v42, v42, v193                               // 000000005D3C: 0A55832A
	v_mov_b32_e32 v4, v42                                      // 000000005D40: 7E08032A
	v_mov_b32_e32 v5, v4                                       // 000000005D44: 7E0A0304
	v_pk_mul_f32 v[96:97], v[4:5], v[96:97]                    // 000000005D48: D3B14060 1802C104
	v_pk_mul_f32 v[152:153], v[4:5], v[152:153]                // 000000005D50: D3B14098 18033104
	v_pk_mul_f32 v[98:99], v[4:5], v[98:99]                    // 000000005D58: D3B14062 1802C504
	v_pk_mul_f32 v[154:155], v[4:5], v[154:155]                // 000000005D60: D3B1409A 18033504
	v_pk_mul_f32 v[124:125], v[4:5], v[124:125]                // 000000005D68: D3B1407C 1802F904
	v_pk_mul_f32 v[180:181], v[4:5], v[180:181]                // 000000005D70: D3B140B4 18036904
	v_pk_mul_f32 v[126:127], v[4:5], v[126:127]                // 000000005D78: D3B1407E 1802FD04
	v_pk_mul_f32 v[182:183], v[4:5], v[182:183]                // 000000005D80: D3B140B6 18036D04
	v_mul_f32_e32 v43, v43, v194                               // 000000005D88: 0A57852B
	v_mov_b32_e32 v4, v43                                      // 000000005D8C: 7E08032B
	v_mov_b32_e32 v5, v4                                       // 000000005D90: 7E0A0304
	v_pk_mul_f32 v[100:101], v[4:5], v[100:101]                // 000000005D94: D3B14064 1802C904
	v_pk_mul_f32 v[156:157], v[4:5], v[156:157]                // 000000005D9C: D3B1409C 18033904
	v_pk_mul_f32 v[102:103], v[4:5], v[102:103]                // 000000005DA4: D3B14066 1802CD04
	v_pk_mul_f32 v[158:159], v[4:5], v[158:159]                // 000000005DAC: D3B1409E 18033D04
	v_pk_mul_f32 v[128:129], v[4:5], v[128:129]                // 000000005DB4: D3B14080 18030104
	v_pk_mul_f32 v[184:185], v[4:5], v[184:185]                // 000000005DBC: D3B140B8 18037104
	v_pk_mul_f32 v[130:131], v[4:5], v[130:131]                // 000000005DC4: D3B14082 18030504
	v_pk_mul_f32 v[186:187], v[4:5], v[186:187]                // 000000005DCC: D3B140BA 18037504
	s_cmp_eq_u32 s88, 0                                        // 000000005DD4: BF068058
	s_cbranch_scc0 label_1530                                  // 000000005DD8: BF840839
	s_cmp_eq_u32 s89, 0                                        // 000000005DDC: BF068059
	s_cbranch_scc1 label_0F2E                                  // 000000005DE0: BF850235
	v_mov_b32_e32 v8, v1                                       // 000000005DE4: 7E100301
	v_mov_b32_e32 v9, v1                                       // 000000005DE8: 7E120301
	s_mov_b32 s60, s6                                          // 000000005DEC: BEBC0006
	s_mov_b32 s61, s6                                          // 000000005DF0: BEBD0006
	v_pk_mul_f32 v[4:5], v[76:77], v[76:77]                    // 000000005DF4: D3B14004 1802994C
	v_pk_mul_f32 v[6:7], v[78:79], v[78:79]                    // 000000005DFC: D3B14006 18029D4E
	v_pk_fma_f32 v[4:5], v[4:5], s[78:79], v[8:9]              // 000000005E04: D3B04004 1C209D04
	v_pk_fma_f32 v[6:7], v[6:7], s[78:79], v[8:9]              // 000000005E0C: D3B04006 1C209D06
	v_pk_mul_f32 v[4:5], v[4:5], v[76:77]                      // 000000005E14: D3B14004 18029904
	v_pk_mul_f32 v[6:7], v[6:7], v[78:79]                      // 000000005E1C: D3B14006 18029D06
	v_pk_mul_f32 v[4:5], v[4:5], s[60:61]                      // 000000005E24: D3B14004 18007904
	v_pk_mul_f32 v[6:7], v[6:7], s[60:61]                      // 000000005E2C: D3B14006 18007906
	v_exp_f32_e32 v4, v4                                       // 000000005E34: 7E084104
	v_exp_f32_e32 v5, v5                                       // 000000005E38: 7E0A4105
	v_exp_f32_e32 v6, v6                                       // 000000005E3C: 7E0C4106
	v_exp_f32_e32 v7, v7                                       // 000000005E40: 7E0E4107
	v_add_f32_e64 v4, v4, 1.0                                  // 000000005E44: D1010004 0001E504
	v_add_f32_e64 v5, v5, 1.0                                  // 000000005E4C: D1010005 0001E505
	v_add_f32_e64 v6, v6, 1.0                                  // 000000005E54: D1010006 0001E506
	v_add_f32_e64 v7, v7, 1.0                                  // 000000005E5C: D1010007 0001E507
	v_rcp_f32_e32 v4, v4                                       // 000000005E64: 7E084504
	v_rcp_f32_e32 v5, v5                                       // 000000005E68: 7E0A4505
	v_rcp_f32_e32 v6, v6                                       // 000000005E6C: 7E0C4506
	v_rcp_f32_e32 v7, v7                                       // 000000005E70: 7E0E4507
	v_mul_f32_e32 v76, v76, v4                                 // 000000005E74: 0A98094C
	v_mul_f32_e32 v77, v77, v5                                 // 000000005E78: 0A9A0B4D
	v_mul_f32_e32 v78, v78, v6                                 // 000000005E7C: 0A9C0D4E
	v_mul_f32_e32 v79, v79, v7                                 // 000000005E80: 0A9E0F4F
	v_mul_f32_e32 v76, v76, v132                               // 000000005E84: 0A99094C
	v_mul_f32_e32 v77, v77, v133                               // 000000005E88: 0A9B0B4D
	v_mul_f32_e32 v78, v78, v134                               // 000000005E8C: 0A9D0D4E
	v_mul_f32_e32 v79, v79, v135                               // 000000005E90: 0A9F0F4F
	v_pk_mul_f32 v[4:5], v[80:81], v[80:81]                    // 000000005E94: D3B14004 1802A150
	v_pk_mul_f32 v[6:7], v[82:83], v[82:83]                    // 000000005E9C: D3B14006 1802A552
	v_pk_fma_f32 v[4:5], v[4:5], s[78:79], v[8:9]              // 000000005EA4: D3B04004 1C209D04
	v_pk_fma_f32 v[6:7], v[6:7], s[78:79], v[8:9]              // 000000005EAC: D3B04006 1C209D06
	v_pk_mul_f32 v[4:5], v[4:5], v[80:81]                      // 000000005EB4: D3B14004 1802A104
	v_pk_mul_f32 v[6:7], v[6:7], v[82:83]                      // 000000005EBC: D3B14006 1802A506
	v_pk_mul_f32 v[4:5], v[4:5], s[60:61]                      // 000000005EC4: D3B14004 18007904
	v_pk_mul_f32 v[6:7], v[6:7], s[60:61]                      // 000000005ECC: D3B14006 18007906
	v_exp_f32_e32 v4, v4                                       // 000000005ED4: 7E084104
	v_exp_f32_e32 v5, v5                                       // 000000005ED8: 7E0A4105
	v_exp_f32_e32 v6, v6                                       // 000000005EDC: 7E0C4106
	v_exp_f32_e32 v7, v7                                       // 000000005EE0: 7E0E4107
	v_add_f32_e64 v4, v4, 1.0                                  // 000000005EE4: D1010004 0001E504
	v_add_f32_e64 v5, v5, 1.0                                  // 000000005EEC: D1010005 0001E505
	v_add_f32_e64 v6, v6, 1.0                                  // 000000005EF4: D1010006 0001E506
	v_add_f32_e64 v7, v7, 1.0                                  // 000000005EFC: D1010007 0001E507
	v_rcp_f32_e32 v4, v4                                       // 000000005F04: 7E084504
	v_rcp_f32_e32 v5, v5                                       // 000000005F08: 7E0A4505
	v_rcp_f32_e32 v6, v6                                       // 000000005F0C: 7E0C4506
	v_rcp_f32_e32 v7, v7                                       // 000000005F10: 7E0E4507
	v_mul_f32_e32 v80, v80, v4                                 // 000000005F14: 0AA00950
	v_mul_f32_e32 v81, v81, v5                                 // 000000005F18: 0AA20B51
	v_mul_f32_e32 v82, v82, v6                                 // 000000005F1C: 0AA40D52
	v_mul_f32_e32 v83, v83, v7                                 // 000000005F20: 0AA60F53
	v_mul_f32_e32 v80, v80, v136                               // 000000005F24: 0AA11150
	v_mul_f32_e32 v81, v81, v137                               // 000000005F28: 0AA31351
	v_mul_f32_e32 v82, v82, v138                               // 000000005F2C: 0AA51552
	v_mul_f32_e32 v83, v83, v139                               // 000000005F30: 0AA71753
	v_pk_mul_f32 v[4:5], v[84:85], v[84:85]                    // 000000005F34: D3B14004 1802A954
	v_pk_mul_f32 v[6:7], v[86:87], v[86:87]                    // 000000005F3C: D3B14006 1802AD56
	v_pk_fma_f32 v[4:5], v[4:5], s[78:79], v[8:9]              // 000000005F44: D3B04004 1C209D04
	v_pk_fma_f32 v[6:7], v[6:7], s[78:79], v[8:9]              // 000000005F4C: D3B04006 1C209D06
	v_pk_mul_f32 v[4:5], v[4:5], v[84:85]                      // 000000005F54: D3B14004 1802A904
	v_pk_mul_f32 v[6:7], v[6:7], v[86:87]                      // 000000005F5C: D3B14006 1802AD06
	v_pk_mul_f32 v[4:5], v[4:5], s[60:61]                      // 000000005F64: D3B14004 18007904
	v_pk_mul_f32 v[6:7], v[6:7], s[60:61]                      // 000000005F6C: D3B14006 18007906
	v_exp_f32_e32 v4, v4                                       // 000000005F74: 7E084104
	v_exp_f32_e32 v5, v5                                       // 000000005F78: 7E0A4105
	v_exp_f32_e32 v6, v6                                       // 000000005F7C: 7E0C4106
	v_exp_f32_e32 v7, v7                                       // 000000005F80: 7E0E4107
	v_add_f32_e64 v4, v4, 1.0                                  // 000000005F84: D1010004 0001E504
	v_add_f32_e64 v5, v5, 1.0                                  // 000000005F8C: D1010005 0001E505
	v_add_f32_e64 v6, v6, 1.0                                  // 000000005F94: D1010006 0001E506
	v_add_f32_e64 v7, v7, 1.0                                  // 000000005F9C: D1010007 0001E507
	v_rcp_f32_e32 v4, v4                                       // 000000005FA4: 7E084504
	v_rcp_f32_e32 v5, v5                                       // 000000005FA8: 7E0A4505
	v_rcp_f32_e32 v6, v6                                       // 000000005FAC: 7E0C4506
	v_rcp_f32_e32 v7, v7                                       // 000000005FB0: 7E0E4507
	v_mul_f32_e32 v84, v84, v4                                 // 000000005FB4: 0AA80954
	v_mul_f32_e32 v85, v85, v5                                 // 000000005FB8: 0AAA0B55
	v_mul_f32_e32 v86, v86, v6                                 // 000000005FBC: 0AAC0D56
	v_mul_f32_e32 v87, v87, v7                                 // 000000005FC0: 0AAE0F57
	v_mul_f32_e32 v84, v84, v140                               // 000000005FC4: 0AA91954
	v_mul_f32_e32 v85, v85, v141                               // 000000005FC8: 0AAB1B55
	v_mul_f32_e32 v86, v86, v142                               // 000000005FCC: 0AAD1D56
	v_mul_f32_e32 v87, v87, v143                               // 000000005FD0: 0AAF1F57
	v_pk_mul_f32 v[4:5], v[88:89], v[88:89]                    // 000000005FD4: D3B14004 1802B158
	v_pk_mul_f32 v[6:7], v[90:91], v[90:91]                    // 000000005FDC: D3B14006 1802B55A
	v_pk_fma_f32 v[4:5], v[4:5], s[78:79], v[8:9]              // 000000005FE4: D3B04004 1C209D04
	v_pk_fma_f32 v[6:7], v[6:7], s[78:79], v[8:9]              // 000000005FEC: D3B04006 1C209D06
	v_pk_mul_f32 v[4:5], v[4:5], v[88:89]                      // 000000005FF4: D3B14004 1802B104
	v_pk_mul_f32 v[6:7], v[6:7], v[90:91]                      // 000000005FFC: D3B14006 1802B506
	v_pk_mul_f32 v[4:5], v[4:5], s[60:61]                      // 000000006004: D3B14004 18007904
	v_pk_mul_f32 v[6:7], v[6:7], s[60:61]                      // 00000000600C: D3B14006 18007906
	v_exp_f32_e32 v4, v4                                       // 000000006014: 7E084104
	v_exp_f32_e32 v5, v5                                       // 000000006018: 7E0A4105
	v_exp_f32_e32 v6, v6                                       // 00000000601C: 7E0C4106
	v_exp_f32_e32 v7, v7                                       // 000000006020: 7E0E4107
	v_add_f32_e64 v4, v4, 1.0                                  // 000000006024: D1010004 0001E504
	v_add_f32_e64 v5, v5, 1.0                                  // 00000000602C: D1010005 0001E505
	v_add_f32_e64 v6, v6, 1.0                                  // 000000006034: D1010006 0001E506
	v_add_f32_e64 v7, v7, 1.0                                  // 00000000603C: D1010007 0001E507
	v_rcp_f32_e32 v4, v4                                       // 000000006044: 7E084504
	v_rcp_f32_e32 v5, v5                                       // 000000006048: 7E0A4505
	v_rcp_f32_e32 v6, v6                                       // 00000000604C: 7E0C4506
	v_rcp_f32_e32 v7, v7                                       // 000000006050: 7E0E4507
	v_mul_f32_e32 v88, v88, v4                                 // 000000006054: 0AB00958
	v_mul_f32_e32 v89, v89, v5                                 // 000000006058: 0AB20B59
	v_mul_f32_e32 v90, v90, v6                                 // 00000000605C: 0AB40D5A
	v_mul_f32_e32 v91, v91, v7                                 // 000000006060: 0AB60F5B
	v_mul_f32_e32 v88, v88, v144                               // 000000006064: 0AB12158
	v_mul_f32_e32 v89, v89, v145                               // 000000006068: 0AB32359
	v_mul_f32_e32 v90, v90, v146                               // 00000000606C: 0AB5255A
	v_mul_f32_e32 v91, v91, v147                               // 000000006070: 0AB7275B
	v_pk_mul_f32 v[4:5], v[92:93], v[92:93]                    // 000000006074: D3B14004 1802B95C
	v_pk_mul_f32 v[6:7], v[94:95], v[94:95]                    // 00000000607C: D3B14006 1802BD5E
	v_pk_fma_f32 v[4:5], v[4:5], s[78:79], v[8:9]              // 000000006084: D3B04004 1C209D04
	v_pk_fma_f32 v[6:7], v[6:7], s[78:79], v[8:9]              // 00000000608C: D3B04006 1C209D06
	v_pk_mul_f32 v[4:5], v[4:5], v[92:93]                      // 000000006094: D3B14004 1802B904
	v_pk_mul_f32 v[6:7], v[6:7], v[94:95]                      // 00000000609C: D3B14006 1802BD06
	v_pk_mul_f32 v[4:5], v[4:5], s[60:61]                      // 0000000060A4: D3B14004 18007904
	v_pk_mul_f32 v[6:7], v[6:7], s[60:61]                      // 0000000060AC: D3B14006 18007906
	v_exp_f32_e32 v4, v4                                       // 0000000060B4: 7E084104
	v_exp_f32_e32 v5, v5                                       // 0000000060B8: 7E0A4105
	v_exp_f32_e32 v6, v6                                       // 0000000060BC: 7E0C4106
	v_exp_f32_e32 v7, v7                                       // 0000000060C0: 7E0E4107
	v_add_f32_e64 v4, v4, 1.0                                  // 0000000060C4: D1010004 0001E504
	v_add_f32_e64 v5, v5, 1.0                                  // 0000000060CC: D1010005 0001E505
	v_add_f32_e64 v6, v6, 1.0                                  // 0000000060D4: D1010006 0001E506
	v_add_f32_e64 v7, v7, 1.0                                  // 0000000060DC: D1010007 0001E507
	v_rcp_f32_e32 v4, v4                                       // 0000000060E4: 7E084504
	v_rcp_f32_e32 v5, v5                                       // 0000000060E8: 7E0A4505
	v_rcp_f32_e32 v6, v6                                       // 0000000060EC: 7E0C4506
	v_rcp_f32_e32 v7, v7                                       // 0000000060F0: 7E0E4507
	v_mul_f32_e32 v92, v92, v4                                 // 0000000060F4: 0AB8095C
	v_mul_f32_e32 v93, v93, v5                                 // 0000000060F8: 0ABA0B5D
	v_mul_f32_e32 v94, v94, v6                                 // 0000000060FC: 0ABC0D5E
	v_mul_f32_e32 v95, v95, v7                                 // 000000006100: 0ABE0F5F
	v_mul_f32_e32 v92, v92, v148                               // 000000006104: 0AB9295C
	v_mul_f32_e32 v93, v93, v149                               // 000000006108: 0ABB2B5D
	v_mul_f32_e32 v94, v94, v150                               // 00000000610C: 0ABD2D5E
	v_mul_f32_e32 v95, v95, v151                               // 000000006110: 0ABF2F5F
	v_pk_mul_f32 v[4:5], v[96:97], v[96:97]                    // 000000006114: D3B14004 1802C160
	v_pk_mul_f32 v[6:7], v[98:99], v[98:99]                    // 00000000611C: D3B14006 1802C562
	v_pk_fma_f32 v[4:5], v[4:5], s[78:79], v[8:9]              // 000000006124: D3B04004 1C209D04
	v_pk_fma_f32 v[6:7], v[6:7], s[78:79], v[8:9]              // 00000000612C: D3B04006 1C209D06
	v_pk_mul_f32 v[4:5], v[4:5], v[96:97]                      // 000000006134: D3B14004 1802C104
	v_pk_mul_f32 v[6:7], v[6:7], v[98:99]                      // 00000000613C: D3B14006 1802C506
	v_pk_mul_f32 v[4:5], v[4:5], s[60:61]                      // 000000006144: D3B14004 18007904
	v_pk_mul_f32 v[6:7], v[6:7], s[60:61]                      // 00000000614C: D3B14006 18007906
	v_exp_f32_e32 v4, v4                                       // 000000006154: 7E084104
	v_exp_f32_e32 v5, v5                                       // 000000006158: 7E0A4105
	v_exp_f32_e32 v6, v6                                       // 00000000615C: 7E0C4106
	v_exp_f32_e32 v7, v7                                       // 000000006160: 7E0E4107
	v_add_f32_e64 v4, v4, 1.0                                  // 000000006164: D1010004 0001E504
	v_add_f32_e64 v5, v5, 1.0                                  // 00000000616C: D1010005 0001E505
	v_add_f32_e64 v6, v6, 1.0                                  // 000000006174: D1010006 0001E506
	v_add_f32_e64 v7, v7, 1.0                                  // 00000000617C: D1010007 0001E507
	v_rcp_f32_e32 v4, v4                                       // 000000006184: 7E084504
	v_rcp_f32_e32 v5, v5                                       // 000000006188: 7E0A4505
	v_rcp_f32_e32 v6, v6                                       // 00000000618C: 7E0C4506
	v_rcp_f32_e32 v7, v7                                       // 000000006190: 7E0E4507
	v_mul_f32_e32 v96, v96, v4                                 // 000000006194: 0AC00960
	v_mul_f32_e32 v97, v97, v5                                 // 000000006198: 0AC20B61
	v_mul_f32_e32 v98, v98, v6                                 // 00000000619C: 0AC40D62
	v_mul_f32_e32 v99, v99, v7                                 // 0000000061A0: 0AC60F63
	v_mul_f32_e32 v96, v96, v152                               // 0000000061A4: 0AC13160
	v_mul_f32_e32 v97, v97, v153                               // 0000000061A8: 0AC33361
	v_mul_f32_e32 v98, v98, v154                               // 0000000061AC: 0AC53562
	v_mul_f32_e32 v99, v99, v155                               // 0000000061B0: 0AC73763
	v_pk_mul_f32 v[4:5], v[100:101], v[100:101]                // 0000000061B4: D3B14004 1802C964
	v_pk_mul_f32 v[6:7], v[102:103], v[102:103]                // 0000000061BC: D3B14006 1802CD66
	v_pk_fma_f32 v[4:5], v[4:5], s[78:79], v[8:9]              // 0000000061C4: D3B04004 1C209D04
	v_pk_fma_f32 v[6:7], v[6:7], s[78:79], v[8:9]              // 0000000061CC: D3B04006 1C209D06
	v_pk_mul_f32 v[4:5], v[4:5], v[100:101]                    // 0000000061D4: D3B14004 1802C904
	v_pk_mul_f32 v[6:7], v[6:7], v[102:103]                    // 0000000061DC: D3B14006 1802CD06
	v_pk_mul_f32 v[4:5], v[4:5], s[60:61]                      // 0000000061E4: D3B14004 18007904
	v_pk_mul_f32 v[6:7], v[6:7], s[60:61]                      // 0000000061EC: D3B14006 18007906
	v_exp_f32_e32 v4, v4                                       // 0000000061F4: 7E084104
	v_exp_f32_e32 v5, v5                                       // 0000000061F8: 7E0A4105
	v_exp_f32_e32 v6, v6                                       // 0000000061FC: 7E0C4106
	v_exp_f32_e32 v7, v7                                       // 000000006200: 7E0E4107
	v_add_f32_e64 v4, v4, 1.0                                  // 000000006204: D1010004 0001E504
	v_add_f32_e64 v5, v5, 1.0                                  // 00000000620C: D1010005 0001E505
	v_add_f32_e64 v6, v6, 1.0                                  // 000000006214: D1010006 0001E506
	v_add_f32_e64 v7, v7, 1.0                                  // 00000000621C: D1010007 0001E507
	v_rcp_f32_e32 v4, v4                                       // 000000006224: 7E084504
	v_rcp_f32_e32 v5, v5                                       // 000000006228: 7E0A4505
	v_rcp_f32_e32 v6, v6                                       // 00000000622C: 7E0C4506
	v_rcp_f32_e32 v7, v7                                       // 000000006230: 7E0E4507
	v_mul_f32_e32 v100, v100, v4                               // 000000006234: 0AC80964
	v_mul_f32_e32 v101, v101, v5                               // 000000006238: 0ACA0B65
	v_mul_f32_e32 v102, v102, v6                               // 00000000623C: 0ACC0D66
	v_mul_f32_e32 v103, v103, v7                               // 000000006240: 0ACE0F67
	v_mul_f32_e32 v100, v100, v156                             // 000000006244: 0AC93964
	v_mul_f32_e32 v101, v101, v157                             // 000000006248: 0ACB3B65
	v_mul_f32_e32 v102, v102, v158                             // 00000000624C: 0ACD3D66
	v_mul_f32_e32 v103, v103, v159                             // 000000006250: 0ACF3F67
	v_pk_mul_f32 v[4:5], v[104:105], v[104:105]                // 000000006254: D3B14004 1802D168
	v_pk_mul_f32 v[6:7], v[106:107], v[106:107]                // 00000000625C: D3B14006 1802D56A
	v_pk_fma_f32 v[4:5], v[4:5], s[78:79], v[8:9]              // 000000006264: D3B04004 1C209D04
	v_pk_fma_f32 v[6:7], v[6:7], s[78:79], v[8:9]              // 00000000626C: D3B04006 1C209D06
	v_pk_mul_f32 v[4:5], v[4:5], v[104:105]                    // 000000006274: D3B14004 1802D104
	v_pk_mul_f32 v[6:7], v[6:7], v[106:107]                    // 00000000627C: D3B14006 1802D506
	v_pk_mul_f32 v[4:5], v[4:5], s[60:61]                      // 000000006284: D3B14004 18007904
	v_pk_mul_f32 v[6:7], v[6:7], s[60:61]                      // 00000000628C: D3B14006 18007906
	v_exp_f32_e32 v4, v4                                       // 000000006294: 7E084104
	v_exp_f32_e32 v5, v5                                       // 000000006298: 7E0A4105
	v_exp_f32_e32 v6, v6                                       // 00000000629C: 7E0C4106
	v_exp_f32_e32 v7, v7                                       // 0000000062A0: 7E0E4107
	v_add_f32_e64 v4, v4, 1.0                                  // 0000000062A4: D1010004 0001E504
	v_add_f32_e64 v5, v5, 1.0                                  // 0000000062AC: D1010005 0001E505
	v_add_f32_e64 v6, v6, 1.0                                  // 0000000062B4: D1010006 0001E506
	v_add_f32_e64 v7, v7, 1.0                                  // 0000000062BC: D1010007 0001E507
	v_rcp_f32_e32 v4, v4                                       // 0000000062C4: 7E084504
	v_rcp_f32_e32 v5, v5                                       // 0000000062C8: 7E0A4505
	v_rcp_f32_e32 v6, v6                                       // 0000000062CC: 7E0C4506
	v_rcp_f32_e32 v7, v7                                       // 0000000062D0: 7E0E4507
	v_mul_f32_e32 v104, v104, v4                               // 0000000062D4: 0AD00968
	v_mul_f32_e32 v105, v105, v5                               // 0000000062D8: 0AD20B69
	v_mul_f32_e32 v106, v106, v6                               // 0000000062DC: 0AD40D6A
	v_mul_f32_e32 v107, v107, v7                               // 0000000062E0: 0AD60F6B
	v_mul_f32_e32 v104, v104, v160                             // 0000000062E4: 0AD14168
	v_mul_f32_e32 v105, v105, v161                             // 0000000062E8: 0AD34369
	v_mul_f32_e32 v106, v106, v162                             // 0000000062EC: 0AD5456A
	v_mul_f32_e32 v107, v107, v163                             // 0000000062F0: 0AD7476B
	v_pk_mul_f32 v[4:5], v[108:109], v[108:109]                // 0000000062F4: D3B14004 1802D96C
	v_pk_mul_f32 v[6:7], v[110:111], v[110:111]                // 0000000062FC: D3B14006 1802DD6E
	v_pk_fma_f32 v[4:5], v[4:5], s[78:79], v[8:9]              // 000000006304: D3B04004 1C209D04
	v_pk_fma_f32 v[6:7], v[6:7], s[78:79], v[8:9]              // 00000000630C: D3B04006 1C209D06
	v_pk_mul_f32 v[4:5], v[4:5], v[108:109]                    // 000000006314: D3B14004 1802D904
	v_pk_mul_f32 v[6:7], v[6:7], v[110:111]                    // 00000000631C: D3B14006 1802DD06
	v_pk_mul_f32 v[4:5], v[4:5], s[60:61]                      // 000000006324: D3B14004 18007904
	v_pk_mul_f32 v[6:7], v[6:7], s[60:61]                      // 00000000632C: D3B14006 18007906
	v_exp_f32_e32 v4, v4                                       // 000000006334: 7E084104
	v_exp_f32_e32 v5, v5                                       // 000000006338: 7E0A4105
	v_exp_f32_e32 v6, v6                                       // 00000000633C: 7E0C4106
	v_exp_f32_e32 v7, v7                                       // 000000006340: 7E0E4107
	v_add_f32_e64 v4, v4, 1.0                                  // 000000006344: D1010004 0001E504
	v_add_f32_e64 v5, v5, 1.0                                  // 00000000634C: D1010005 0001E505
	v_add_f32_e64 v6, v6, 1.0                                  // 000000006354: D1010006 0001E506
	v_add_f32_e64 v7, v7, 1.0                                  // 00000000635C: D1010007 0001E507
	v_rcp_f32_e32 v4, v4                                       // 000000006364: 7E084504
	v_rcp_f32_e32 v5, v5                                       // 000000006368: 7E0A4505
	v_rcp_f32_e32 v6, v6                                       // 00000000636C: 7E0C4506
	v_rcp_f32_e32 v7, v7                                       // 000000006370: 7E0E4507
	v_mul_f32_e32 v108, v108, v4                               // 000000006374: 0AD8096C
	v_mul_f32_e32 v109, v109, v5                               // 000000006378: 0ADA0B6D
	v_mul_f32_e32 v110, v110, v6                               // 00000000637C: 0ADC0D6E
	v_mul_f32_e32 v111, v111, v7                               // 000000006380: 0ADE0F6F
	v_mul_f32_e32 v108, v108, v164                             // 000000006384: 0AD9496C
	v_mul_f32_e32 v109, v109, v165                             // 000000006388: 0ADB4B6D
	v_mul_f32_e32 v110, v110, v166                             // 00000000638C: 0ADD4D6E
	v_mul_f32_e32 v111, v111, v167                             // 000000006390: 0ADF4F6F
	v_pk_mul_f32 v[4:5], v[112:113], v[112:113]                // 000000006394: D3B14004 1802E170
	v_pk_mul_f32 v[6:7], v[114:115], v[114:115]                // 00000000639C: D3B14006 1802E572
	v_pk_fma_f32 v[4:5], v[4:5], s[78:79], v[8:9]              // 0000000063A4: D3B04004 1C209D04
	v_pk_fma_f32 v[6:7], v[6:7], s[78:79], v[8:9]              // 0000000063AC: D3B04006 1C209D06
	v_pk_mul_f32 v[4:5], v[4:5], v[112:113]                    // 0000000063B4: D3B14004 1802E104
	v_pk_mul_f32 v[6:7], v[6:7], v[114:115]                    // 0000000063BC: D3B14006 1802E506
	v_pk_mul_f32 v[4:5], v[4:5], s[60:61]                      // 0000000063C4: D3B14004 18007904
	v_pk_mul_f32 v[6:7], v[6:7], s[60:61]                      // 0000000063CC: D3B14006 18007906
	v_exp_f32_e32 v4, v4                                       // 0000000063D4: 7E084104
	v_exp_f32_e32 v5, v5                                       // 0000000063D8: 7E0A4105
	v_exp_f32_e32 v6, v6                                       // 0000000063DC: 7E0C4106
	v_exp_f32_e32 v7, v7                                       // 0000000063E0: 7E0E4107
	v_add_f32_e64 v4, v4, 1.0                                  // 0000000063E4: D1010004 0001E504
	v_add_f32_e64 v5, v5, 1.0                                  // 0000000063EC: D1010005 0001E505
	v_add_f32_e64 v6, v6, 1.0                                  // 0000000063F4: D1010006 0001E506
	v_add_f32_e64 v7, v7, 1.0                                  // 0000000063FC: D1010007 0001E507
	v_rcp_f32_e32 v4, v4                                       // 000000006404: 7E084504
	v_rcp_f32_e32 v5, v5                                       // 000000006408: 7E0A4505
	v_rcp_f32_e32 v6, v6                                       // 00000000640C: 7E0C4506
	v_rcp_f32_e32 v7, v7                                       // 000000006410: 7E0E4507
	v_mul_f32_e32 v112, v112, v4                               // 000000006414: 0AE00970
	v_mul_f32_e32 v113, v113, v5                               // 000000006418: 0AE20B71
	v_mul_f32_e32 v114, v114, v6                               // 00000000641C: 0AE40D72
	v_mul_f32_e32 v115, v115, v7                               // 000000006420: 0AE60F73
	v_mul_f32_e32 v112, v112, v168                             // 000000006424: 0AE15170
	v_mul_f32_e32 v113, v113, v169                             // 000000006428: 0AE35371
	v_mul_f32_e32 v114, v114, v170                             // 00000000642C: 0AE55572
	v_mul_f32_e32 v115, v115, v171                             // 000000006430: 0AE75773
	v_pk_mul_f32 v[4:5], v[116:117], v[116:117]                // 000000006434: D3B14004 1802E974
	v_pk_mul_f32 v[6:7], v[118:119], v[118:119]                // 00000000643C: D3B14006 1802ED76
	v_pk_fma_f32 v[4:5], v[4:5], s[78:79], v[8:9]              // 000000006444: D3B04004 1C209D04
	v_pk_fma_f32 v[6:7], v[6:7], s[78:79], v[8:9]              // 00000000644C: D3B04006 1C209D06
	v_pk_mul_f32 v[4:5], v[4:5], v[116:117]                    // 000000006454: D3B14004 1802E904
	v_pk_mul_f32 v[6:7], v[6:7], v[118:119]                    // 00000000645C: D3B14006 1802ED06
	v_pk_mul_f32 v[4:5], v[4:5], s[60:61]                      // 000000006464: D3B14004 18007904
	v_pk_mul_f32 v[6:7], v[6:7], s[60:61]                      // 00000000646C: D3B14006 18007906
	v_exp_f32_e32 v4, v4                                       // 000000006474: 7E084104
	v_exp_f32_e32 v5, v5                                       // 000000006478: 7E0A4105
	v_exp_f32_e32 v6, v6                                       // 00000000647C: 7E0C4106
	v_exp_f32_e32 v7, v7                                       // 000000006480: 7E0E4107
	v_add_f32_e64 v4, v4, 1.0                                  // 000000006484: D1010004 0001E504
	v_add_f32_e64 v5, v5, 1.0                                  // 00000000648C: D1010005 0001E505
	v_add_f32_e64 v6, v6, 1.0                                  // 000000006494: D1010006 0001E506
	v_add_f32_e64 v7, v7, 1.0                                  // 00000000649C: D1010007 0001E507
	v_rcp_f32_e32 v4, v4                                       // 0000000064A4: 7E084504
	v_rcp_f32_e32 v5, v5                                       // 0000000064A8: 7E0A4505
	v_rcp_f32_e32 v6, v6                                       // 0000000064AC: 7E0C4506
	v_rcp_f32_e32 v7, v7                                       // 0000000064B0: 7E0E4507
	v_mul_f32_e32 v116, v116, v4                               // 0000000064B4: 0AE80974
	v_mul_f32_e32 v117, v117, v5                               // 0000000064B8: 0AEA0B75
	v_mul_f32_e32 v118, v118, v6                               // 0000000064BC: 0AEC0D76
	v_mul_f32_e32 v119, v119, v7                               // 0000000064C0: 0AEE0F77
	v_mul_f32_e32 v116, v116, v172                             // 0000000064C4: 0AE95974
	v_mul_f32_e32 v117, v117, v173                             // 0000000064C8: 0AEB5B75
	v_mul_f32_e32 v118, v118, v174                             // 0000000064CC: 0AED5D76
	v_mul_f32_e32 v119, v119, v175                             // 0000000064D0: 0AEF5F77
	v_pk_mul_f32 v[4:5], v[120:121], v[120:121]                // 0000000064D4: D3B14004 1802F178
	v_pk_mul_f32 v[6:7], v[122:123], v[122:123]                // 0000000064DC: D3B14006 1802F57A
	v_pk_fma_f32 v[4:5], v[4:5], s[78:79], v[8:9]              // 0000000064E4: D3B04004 1C209D04
	v_pk_fma_f32 v[6:7], v[6:7], s[78:79], v[8:9]              // 0000000064EC: D3B04006 1C209D06
	v_pk_mul_f32 v[4:5], v[4:5], v[120:121]                    // 0000000064F4: D3B14004 1802F104
	v_pk_mul_f32 v[6:7], v[6:7], v[122:123]                    // 0000000064FC: D3B14006 1802F506
	v_pk_mul_f32 v[4:5], v[4:5], s[60:61]                      // 000000006504: D3B14004 18007904
	v_pk_mul_f32 v[6:7], v[6:7], s[60:61]                      // 00000000650C: D3B14006 18007906
	v_exp_f32_e32 v4, v4                                       // 000000006514: 7E084104
	v_exp_f32_e32 v5, v5                                       // 000000006518: 7E0A4105
	v_exp_f32_e32 v6, v6                                       // 00000000651C: 7E0C4106
	v_exp_f32_e32 v7, v7                                       // 000000006520: 7E0E4107
	v_add_f32_e64 v4, v4, 1.0                                  // 000000006524: D1010004 0001E504
	v_add_f32_e64 v5, v5, 1.0                                  // 00000000652C: D1010005 0001E505
	v_add_f32_e64 v6, v6, 1.0                                  // 000000006534: D1010006 0001E506
	v_add_f32_e64 v7, v7, 1.0                                  // 00000000653C: D1010007 0001E507
	v_rcp_f32_e32 v4, v4                                       // 000000006544: 7E084504
	v_rcp_f32_e32 v5, v5                                       // 000000006548: 7E0A4505
	v_rcp_f32_e32 v6, v6                                       // 00000000654C: 7E0C4506
	v_rcp_f32_e32 v7, v7                                       // 000000006550: 7E0E4507
	v_mul_f32_e32 v120, v120, v4                               // 000000006554: 0AF00978
	v_mul_f32_e32 v121, v121, v5                               // 000000006558: 0AF20B79
	v_mul_f32_e32 v122, v122, v6                               // 00000000655C: 0AF40D7A
	v_mul_f32_e32 v123, v123, v7                               // 000000006560: 0AF60F7B
	v_mul_f32_e32 v120, v120, v176                             // 000000006564: 0AF16178
	v_mul_f32_e32 v121, v121, v177                             // 000000006568: 0AF36379
	v_mul_f32_e32 v122, v122, v178                             // 00000000656C: 0AF5657A
	v_mul_f32_e32 v123, v123, v179                             // 000000006570: 0AF7677B
	v_pk_mul_f32 v[4:5], v[124:125], v[124:125]                // 000000006574: D3B14004 1802F97C
	v_pk_mul_f32 v[6:7], v[126:127], v[126:127]                // 00000000657C: D3B14006 1802FD7E
	v_pk_fma_f32 v[4:5], v[4:5], s[78:79], v[8:9]              // 000000006584: D3B04004 1C209D04
	v_pk_fma_f32 v[6:7], v[6:7], s[78:79], v[8:9]              // 00000000658C: D3B04006 1C209D06
	v_pk_mul_f32 v[4:5], v[4:5], v[124:125]                    // 000000006594: D3B14004 1802F904
	v_pk_mul_f32 v[6:7], v[6:7], v[126:127]                    // 00000000659C: D3B14006 1802FD06
	v_pk_mul_f32 v[4:5], v[4:5], s[60:61]                      // 0000000065A4: D3B14004 18007904
	v_pk_mul_f32 v[6:7], v[6:7], s[60:61]                      // 0000000065AC: D3B14006 18007906
	v_exp_f32_e32 v4, v4                                       // 0000000065B4: 7E084104
	v_exp_f32_e32 v5, v5                                       // 0000000065B8: 7E0A4105
	v_exp_f32_e32 v6, v6                                       // 0000000065BC: 7E0C4106
	v_exp_f32_e32 v7, v7                                       // 0000000065C0: 7E0E4107
	v_add_f32_e64 v4, v4, 1.0                                  // 0000000065C4: D1010004 0001E504
	v_add_f32_e64 v5, v5, 1.0                                  // 0000000065CC: D1010005 0001E505
	v_add_f32_e64 v6, v6, 1.0                                  // 0000000065D4: D1010006 0001E506
	v_add_f32_e64 v7, v7, 1.0                                  // 0000000065DC: D1010007 0001E507
	v_rcp_f32_e32 v4, v4                                       // 0000000065E4: 7E084504
	v_rcp_f32_e32 v5, v5                                       // 0000000065E8: 7E0A4505
	v_rcp_f32_e32 v6, v6                                       // 0000000065EC: 7E0C4506
	v_rcp_f32_e32 v7, v7                                       // 0000000065F0: 7E0E4507
	v_mul_f32_e32 v124, v124, v4                               // 0000000065F4: 0AF8097C
	v_mul_f32_e32 v125, v125, v5                               // 0000000065F8: 0AFA0B7D
	v_mul_f32_e32 v126, v126, v6                               // 0000000065FC: 0AFC0D7E
	v_mul_f32_e32 v127, v127, v7                               // 000000006600: 0AFE0F7F
	v_mul_f32_e32 v124, v124, v180                             // 000000006604: 0AF9697C
	v_mul_f32_e32 v125, v125, v181                             // 000000006608: 0AFB6B7D
	v_mul_f32_e32 v126, v126, v182                             // 00000000660C: 0AFD6D7E
	v_mul_f32_e32 v127, v127, v183                             // 000000006610: 0AFF6F7F
	v_pk_mul_f32 v[4:5], v[128:129], v[128:129]                // 000000006614: D3B14004 18030180
	v_pk_mul_f32 v[6:7], v[130:131], v[130:131]                // 00000000661C: D3B14006 18030582
	v_pk_fma_f32 v[4:5], v[4:5], s[78:79], v[8:9]              // 000000006624: D3B04004 1C209D04
	v_pk_fma_f32 v[6:7], v[6:7], s[78:79], v[8:9]              // 00000000662C: D3B04006 1C209D06
	v_pk_mul_f32 v[4:5], v[4:5], v[128:129]                    // 000000006634: D3B14004 18030104
	v_pk_mul_f32 v[6:7], v[6:7], v[130:131]                    // 00000000663C: D3B14006 18030506
	v_pk_mul_f32 v[4:5], v[4:5], s[60:61]                      // 000000006644: D3B14004 18007904
	v_pk_mul_f32 v[6:7], v[6:7], s[60:61]                      // 00000000664C: D3B14006 18007906
	v_exp_f32_e32 v4, v4                                       // 000000006654: 7E084104
	v_exp_f32_e32 v5, v5                                       // 000000006658: 7E0A4105
	v_exp_f32_e32 v6, v6                                       // 00000000665C: 7E0C4106
	v_exp_f32_e32 v7, v7                                       // 000000006660: 7E0E4107
	v_add_f32_e64 v4, v4, 1.0                                  // 000000006664: D1010004 0001E504
	v_add_f32_e64 v5, v5, 1.0                                  // 00000000666C: D1010005 0001E505
	v_add_f32_e64 v6, v6, 1.0                                  // 000000006674: D1010006 0001E506
	v_add_f32_e64 v7, v7, 1.0                                  // 00000000667C: D1010007 0001E507
	v_rcp_f32_e32 v4, v4                                       // 000000006684: 7E084504
	v_rcp_f32_e32 v5, v5                                       // 000000006688: 7E0A4505
	v_rcp_f32_e32 v6, v6                                       // 00000000668C: 7E0C4506
	v_rcp_f32_e32 v7, v7                                       // 000000006690: 7E0E4507
	v_mul_f32_e32 v128, v128, v4                               // 000000006694: 0B000980
	v_mul_f32_e32 v129, v129, v5                               // 000000006698: 0B020B81
	v_mul_f32_e32 v130, v130, v6                               // 00000000669C: 0B040D82
	v_mul_f32_e32 v131, v131, v7                               // 0000000066A0: 0B060F83
	v_mul_f32_e32 v128, v128, v184                             // 0000000066A4: 0B017180
	v_mul_f32_e32 v129, v129, v185                             // 0000000066A8: 0B037381
	v_mul_f32_e32 v130, v130, v186                             // 0000000066AC: 0B057582
	v_mul_f32_e32 v131, v131, v187                             // 0000000066B0: 0B077783
	s_branch label_10EE                                        // 0000000066B4: BF8201C0

00000000000066b8 <label_0F2E>:
	v_mul_f32_e64 v4, -v76, s6                                 // 0000000066B8: D1050004 20000D4C
	v_mul_f32_e64 v5, -v77, s6                                 // 0000000066C0: D1050005 20000D4D
	v_mul_f32_e64 v6, -v78, s6                                 // 0000000066C8: D1050006 20000D4E
	v_mul_f32_e64 v7, -v79, s6                                 // 0000000066D0: D1050007 20000D4F
	v_exp_f32_e32 v4, v4                                       // 0000000066D8: 7E084104
	v_exp_f32_e32 v5, v5                                       // 0000000066DC: 7E0A4105
	v_exp_f32_e32 v6, v6                                       // 0000000066E0: 7E0C4106
	v_exp_f32_e32 v7, v7                                       // 0000000066E4: 7E0E4107
	v_add_f32_e64 v4, v4, 1.0                                  // 0000000066E8: D1010004 0001E504
	v_add_f32_e64 v5, v5, 1.0                                  // 0000000066F0: D1010005 0001E505
	v_add_f32_e64 v6, v6, 1.0                                  // 0000000066F8: D1010006 0001E506
	v_add_f32_e64 v7, v7, 1.0                                  // 000000006700: D1010007 0001E507
	v_rcp_f32_e32 v4, v4                                       // 000000006708: 7E084504
	v_rcp_f32_e32 v5, v5                                       // 00000000670C: 7E0A4505
	v_rcp_f32_e32 v6, v6                                       // 000000006710: 7E0C4506
	v_rcp_f32_e32 v7, v7                                       // 000000006714: 7E0E4507
	v_mul_f32_e32 v76, v76, v4                                 // 000000006718: 0A98094C
	v_mul_f32_e32 v77, v77, v5                                 // 00000000671C: 0A9A0B4D
	v_mul_f32_e32 v78, v78, v6                                 // 000000006720: 0A9C0D4E
	v_mul_f32_e32 v79, v79, v7                                 // 000000006724: 0A9E0F4F
	v_mul_f32_e32 v76, v76, v132                               // 000000006728: 0A99094C
	v_mul_f32_e32 v77, v77, v133                               // 00000000672C: 0A9B0B4D
	v_mul_f32_e32 v78, v78, v134                               // 000000006730: 0A9D0D4E
	v_mul_f32_e32 v79, v79, v135                               // 000000006734: 0A9F0F4F
	v_mul_f32_e64 v4, -v80, s6                                 // 000000006738: D1050004 20000D50
	v_mul_f32_e64 v5, -v81, s6                                 // 000000006740: D1050005 20000D51
	v_mul_f32_e64 v6, -v82, s6                                 // 000000006748: D1050006 20000D52
	v_mul_f32_e64 v7, -v83, s6                                 // 000000006750: D1050007 20000D53
	v_exp_f32_e32 v4, v4                                       // 000000006758: 7E084104
	v_exp_f32_e32 v5, v5                                       // 00000000675C: 7E0A4105
	v_exp_f32_e32 v6, v6                                       // 000000006760: 7E0C4106
	v_exp_f32_e32 v7, v7                                       // 000000006764: 7E0E4107
	v_add_f32_e64 v4, v4, 1.0                                  // 000000006768: D1010004 0001E504
	v_add_f32_e64 v5, v5, 1.0                                  // 000000006770: D1010005 0001E505
	v_add_f32_e64 v6, v6, 1.0                                  // 000000006778: D1010006 0001E506
	v_add_f32_e64 v7, v7, 1.0                                  // 000000006780: D1010007 0001E507
	v_rcp_f32_e32 v4, v4                                       // 000000006788: 7E084504
	v_rcp_f32_e32 v5, v5                                       // 00000000678C: 7E0A4505
	v_rcp_f32_e32 v6, v6                                       // 000000006790: 7E0C4506
	v_rcp_f32_e32 v7, v7                                       // 000000006794: 7E0E4507
	v_mul_f32_e32 v80, v80, v4                                 // 000000006798: 0AA00950
	v_mul_f32_e32 v81, v81, v5                                 // 00000000679C: 0AA20B51
	v_mul_f32_e32 v82, v82, v6                                 // 0000000067A0: 0AA40D52
	v_mul_f32_e32 v83, v83, v7                                 // 0000000067A4: 0AA60F53
	v_mul_f32_e32 v80, v80, v136                               // 0000000067A8: 0AA11150
	v_mul_f32_e32 v81, v81, v137                               // 0000000067AC: 0AA31351
	v_mul_f32_e32 v82, v82, v138                               // 0000000067B0: 0AA51552
	v_mul_f32_e32 v83, v83, v139                               // 0000000067B4: 0AA71753
	v_mul_f32_e64 v4, -v84, s6                                 // 0000000067B8: D1050004 20000D54
	v_mul_f32_e64 v5, -v85, s6                                 // 0000000067C0: D1050005 20000D55
	v_mul_f32_e64 v6, -v86, s6                                 // 0000000067C8: D1050006 20000D56
	v_mul_f32_e64 v7, -v87, s6                                 // 0000000067D0: D1050007 20000D57
	v_exp_f32_e32 v4, v4                                       // 0000000067D8: 7E084104
	v_exp_f32_e32 v5, v5                                       // 0000000067DC: 7E0A4105
	v_exp_f32_e32 v6, v6                                       // 0000000067E0: 7E0C4106
	v_exp_f32_e32 v7, v7                                       // 0000000067E4: 7E0E4107
	v_add_f32_e64 v4, v4, 1.0                                  // 0000000067E8: D1010004 0001E504
	v_add_f32_e64 v5, v5, 1.0                                  // 0000000067F0: D1010005 0001E505
	v_add_f32_e64 v6, v6, 1.0                                  // 0000000067F8: D1010006 0001E506
	v_add_f32_e64 v7, v7, 1.0                                  // 000000006800: D1010007 0001E507
	v_rcp_f32_e32 v4, v4                                       // 000000006808: 7E084504
	v_rcp_f32_e32 v5, v5                                       // 00000000680C: 7E0A4505
	v_rcp_f32_e32 v6, v6                                       // 000000006810: 7E0C4506
	v_rcp_f32_e32 v7, v7                                       // 000000006814: 7E0E4507
	v_mul_f32_e32 v84, v84, v4                                 // 000000006818: 0AA80954
	v_mul_f32_e32 v85, v85, v5                                 // 00000000681C: 0AAA0B55
	v_mul_f32_e32 v86, v86, v6                                 // 000000006820: 0AAC0D56
	v_mul_f32_e32 v87, v87, v7                                 // 000000006824: 0AAE0F57
	v_mul_f32_e32 v84, v84, v140                               // 000000006828: 0AA91954
	v_mul_f32_e32 v85, v85, v141                               // 00000000682C: 0AAB1B55
	v_mul_f32_e32 v86, v86, v142                               // 000000006830: 0AAD1D56
	v_mul_f32_e32 v87, v87, v143                               // 000000006834: 0AAF1F57
	v_mul_f32_e64 v4, -v88, s6                                 // 000000006838: D1050004 20000D58
	v_mul_f32_e64 v5, -v89, s6                                 // 000000006840: D1050005 20000D59
	v_mul_f32_e64 v6, -v90, s6                                 // 000000006848: D1050006 20000D5A
	v_mul_f32_e64 v7, -v91, s6                                 // 000000006850: D1050007 20000D5B
	v_exp_f32_e32 v4, v4                                       // 000000006858: 7E084104
	v_exp_f32_e32 v5, v5                                       // 00000000685C: 7E0A4105
	v_exp_f32_e32 v6, v6                                       // 000000006860: 7E0C4106
	v_exp_f32_e32 v7, v7                                       // 000000006864: 7E0E4107
	v_add_f32_e64 v4, v4, 1.0                                  // 000000006868: D1010004 0001E504
	v_add_f32_e64 v5, v5, 1.0                                  // 000000006870: D1010005 0001E505
	v_add_f32_e64 v6, v6, 1.0                                  // 000000006878: D1010006 0001E506
	v_add_f32_e64 v7, v7, 1.0                                  // 000000006880: D1010007 0001E507
	v_rcp_f32_e32 v4, v4                                       // 000000006888: 7E084504
	v_rcp_f32_e32 v5, v5                                       // 00000000688C: 7E0A4505
	v_rcp_f32_e32 v6, v6                                       // 000000006890: 7E0C4506
	v_rcp_f32_e32 v7, v7                                       // 000000006894: 7E0E4507
	v_mul_f32_e32 v88, v88, v4                                 // 000000006898: 0AB00958
	v_mul_f32_e32 v89, v89, v5                                 // 00000000689C: 0AB20B59
	v_mul_f32_e32 v90, v90, v6                                 // 0000000068A0: 0AB40D5A
	v_mul_f32_e32 v91, v91, v7                                 // 0000000068A4: 0AB60F5B
	v_mul_f32_e32 v88, v88, v144                               // 0000000068A8: 0AB12158
	v_mul_f32_e32 v89, v89, v145                               // 0000000068AC: 0AB32359
	v_mul_f32_e32 v90, v90, v146                               // 0000000068B0: 0AB5255A
	v_mul_f32_e32 v91, v91, v147                               // 0000000068B4: 0AB7275B
	v_mul_f32_e64 v4, -v92, s6                                 // 0000000068B8: D1050004 20000D5C
	v_mul_f32_e64 v5, -v93, s6                                 // 0000000068C0: D1050005 20000D5D
	v_mul_f32_e64 v6, -v94, s6                                 // 0000000068C8: D1050006 20000D5E
	v_mul_f32_e64 v7, -v95, s6                                 // 0000000068D0: D1050007 20000D5F
	v_exp_f32_e32 v4, v4                                       // 0000000068D8: 7E084104
	v_exp_f32_e32 v5, v5                                       // 0000000068DC: 7E0A4105
	v_exp_f32_e32 v6, v6                                       // 0000000068E0: 7E0C4106
	v_exp_f32_e32 v7, v7                                       // 0000000068E4: 7E0E4107
	v_add_f32_e64 v4, v4, 1.0                                  // 0000000068E8: D1010004 0001E504
	v_add_f32_e64 v5, v5, 1.0                                  // 0000000068F0: D1010005 0001E505
	v_add_f32_e64 v6, v6, 1.0                                  // 0000000068F8: D1010006 0001E506
	v_add_f32_e64 v7, v7, 1.0                                  // 000000006900: D1010007 0001E507
	v_rcp_f32_e32 v4, v4                                       // 000000006908: 7E084504
	v_rcp_f32_e32 v5, v5                                       // 00000000690C: 7E0A4505
	v_rcp_f32_e32 v6, v6                                       // 000000006910: 7E0C4506
	v_rcp_f32_e32 v7, v7                                       // 000000006914: 7E0E4507
	v_mul_f32_e32 v92, v92, v4                                 // 000000006918: 0AB8095C
	v_mul_f32_e32 v93, v93, v5                                 // 00000000691C: 0ABA0B5D
	v_mul_f32_e32 v94, v94, v6                                 // 000000006920: 0ABC0D5E
	v_mul_f32_e32 v95, v95, v7                                 // 000000006924: 0ABE0F5F
	v_mul_f32_e32 v92, v92, v148                               // 000000006928: 0AB9295C
	v_mul_f32_e32 v93, v93, v149                               // 00000000692C: 0ABB2B5D
	v_mul_f32_e32 v94, v94, v150                               // 000000006930: 0ABD2D5E
	v_mul_f32_e32 v95, v95, v151                               // 000000006934: 0ABF2F5F
	v_mul_f32_e64 v4, -v96, s6                                 // 000000006938: D1050004 20000D60
	v_mul_f32_e64 v5, -v97, s6                                 // 000000006940: D1050005 20000D61
	v_mul_f32_e64 v6, -v98, s6                                 // 000000006948: D1050006 20000D62
	v_mul_f32_e64 v7, -v99, s6                                 // 000000006950: D1050007 20000D63
	v_exp_f32_e32 v4, v4                                       // 000000006958: 7E084104
	v_exp_f32_e32 v5, v5                                       // 00000000695C: 7E0A4105
	v_exp_f32_e32 v6, v6                                       // 000000006960: 7E0C4106
	v_exp_f32_e32 v7, v7                                       // 000000006964: 7E0E4107
	v_add_f32_e64 v4, v4, 1.0                                  // 000000006968: D1010004 0001E504
	v_add_f32_e64 v5, v5, 1.0                                  // 000000006970: D1010005 0001E505
	v_add_f32_e64 v6, v6, 1.0                                  // 000000006978: D1010006 0001E506
	v_add_f32_e64 v7, v7, 1.0                                  // 000000006980: D1010007 0001E507
	v_rcp_f32_e32 v4, v4                                       // 000000006988: 7E084504
	v_rcp_f32_e32 v5, v5                                       // 00000000698C: 7E0A4505
	v_rcp_f32_e32 v6, v6                                       // 000000006990: 7E0C4506
	v_rcp_f32_e32 v7, v7                                       // 000000006994: 7E0E4507
	v_mul_f32_e32 v96, v96, v4                                 // 000000006998: 0AC00960
	v_mul_f32_e32 v97, v97, v5                                 // 00000000699C: 0AC20B61
	v_mul_f32_e32 v98, v98, v6                                 // 0000000069A0: 0AC40D62
	v_mul_f32_e32 v99, v99, v7                                 // 0000000069A4: 0AC60F63
	v_mul_f32_e32 v96, v96, v152                               // 0000000069A8: 0AC13160
	v_mul_f32_e32 v97, v97, v153                               // 0000000069AC: 0AC33361
	v_mul_f32_e32 v98, v98, v154                               // 0000000069B0: 0AC53562
	v_mul_f32_e32 v99, v99, v155                               // 0000000069B4: 0AC73763
	v_mul_f32_e64 v4, -v100, s6                                // 0000000069B8: D1050004 20000D64
	v_mul_f32_e64 v5, -v101, s6                                // 0000000069C0: D1050005 20000D65
	v_mul_f32_e64 v6, -v102, s6                                // 0000000069C8: D1050006 20000D66
	v_mul_f32_e64 v7, -v103, s6                                // 0000000069D0: D1050007 20000D67
	v_exp_f32_e32 v4, v4                                       // 0000000069D8: 7E084104
	v_exp_f32_e32 v5, v5                                       // 0000000069DC: 7E0A4105
	v_exp_f32_e32 v6, v6                                       // 0000000069E0: 7E0C4106
	v_exp_f32_e32 v7, v7                                       // 0000000069E4: 7E0E4107
	v_add_f32_e64 v4, v4, 1.0                                  // 0000000069E8: D1010004 0001E504
	v_add_f32_e64 v5, v5, 1.0                                  // 0000000069F0: D1010005 0001E505
	v_add_f32_e64 v6, v6, 1.0                                  // 0000000069F8: D1010006 0001E506
	v_add_f32_e64 v7, v7, 1.0                                  // 000000006A00: D1010007 0001E507
	v_rcp_f32_e32 v4, v4                                       // 000000006A08: 7E084504
	v_rcp_f32_e32 v5, v5                                       // 000000006A0C: 7E0A4505
	v_rcp_f32_e32 v6, v6                                       // 000000006A10: 7E0C4506
	v_rcp_f32_e32 v7, v7                                       // 000000006A14: 7E0E4507
	v_mul_f32_e32 v100, v100, v4                               // 000000006A18: 0AC80964
	v_mul_f32_e32 v101, v101, v5                               // 000000006A1C: 0ACA0B65
	v_mul_f32_e32 v102, v102, v6                               // 000000006A20: 0ACC0D66
	v_mul_f32_e32 v103, v103, v7                               // 000000006A24: 0ACE0F67
	v_mul_f32_e32 v100, v100, v156                             // 000000006A28: 0AC93964
	v_mul_f32_e32 v101, v101, v157                             // 000000006A2C: 0ACB3B65
	v_mul_f32_e32 v102, v102, v158                             // 000000006A30: 0ACD3D66
	v_mul_f32_e32 v103, v103, v159                             // 000000006A34: 0ACF3F67
	v_mul_f32_e64 v4, -v104, s6                                // 000000006A38: D1050004 20000D68
	v_mul_f32_e64 v5, -v105, s6                                // 000000006A40: D1050005 20000D69
	v_mul_f32_e64 v6, -v106, s6                                // 000000006A48: D1050006 20000D6A
	v_mul_f32_e64 v7, -v107, s6                                // 000000006A50: D1050007 20000D6B
	v_exp_f32_e32 v4, v4                                       // 000000006A58: 7E084104
	v_exp_f32_e32 v5, v5                                       // 000000006A5C: 7E0A4105
	v_exp_f32_e32 v6, v6                                       // 000000006A60: 7E0C4106
	v_exp_f32_e32 v7, v7                                       // 000000006A64: 7E0E4107
	v_add_f32_e64 v4, v4, 1.0                                  // 000000006A68: D1010004 0001E504
	v_add_f32_e64 v5, v5, 1.0                                  // 000000006A70: D1010005 0001E505
	v_add_f32_e64 v6, v6, 1.0                                  // 000000006A78: D1010006 0001E506
	v_add_f32_e64 v7, v7, 1.0                                  // 000000006A80: D1010007 0001E507
	v_rcp_f32_e32 v4, v4                                       // 000000006A88: 7E084504
	v_rcp_f32_e32 v5, v5                                       // 000000006A8C: 7E0A4505
	v_rcp_f32_e32 v6, v6                                       // 000000006A90: 7E0C4506
	v_rcp_f32_e32 v7, v7                                       // 000000006A94: 7E0E4507
	v_mul_f32_e32 v104, v104, v4                               // 000000006A98: 0AD00968
	v_mul_f32_e32 v105, v105, v5                               // 000000006A9C: 0AD20B69
	v_mul_f32_e32 v106, v106, v6                               // 000000006AA0: 0AD40D6A
	v_mul_f32_e32 v107, v107, v7                               // 000000006AA4: 0AD60F6B
	v_mul_f32_e32 v104, v104, v160                             // 000000006AA8: 0AD14168
	v_mul_f32_e32 v105, v105, v161                             // 000000006AAC: 0AD34369
	v_mul_f32_e32 v106, v106, v162                             // 000000006AB0: 0AD5456A
	v_mul_f32_e32 v107, v107, v163                             // 000000006AB4: 0AD7476B
	v_mul_f32_e64 v4, -v108, s6                                // 000000006AB8: D1050004 20000D6C
	v_mul_f32_e64 v5, -v109, s6                                // 000000006AC0: D1050005 20000D6D
	v_mul_f32_e64 v6, -v110, s6                                // 000000006AC8: D1050006 20000D6E
	v_mul_f32_e64 v7, -v111, s6                                // 000000006AD0: D1050007 20000D6F
	v_exp_f32_e32 v4, v4                                       // 000000006AD8: 7E084104
	v_exp_f32_e32 v5, v5                                       // 000000006ADC: 7E0A4105
	v_exp_f32_e32 v6, v6                                       // 000000006AE0: 7E0C4106
	v_exp_f32_e32 v7, v7                                       // 000000006AE4: 7E0E4107
	v_add_f32_e64 v4, v4, 1.0                                  // 000000006AE8: D1010004 0001E504
	v_add_f32_e64 v5, v5, 1.0                                  // 000000006AF0: D1010005 0001E505
	v_add_f32_e64 v6, v6, 1.0                                  // 000000006AF8: D1010006 0001E506
	v_add_f32_e64 v7, v7, 1.0                                  // 000000006B00: D1010007 0001E507
	v_rcp_f32_e32 v4, v4                                       // 000000006B08: 7E084504
	v_rcp_f32_e32 v5, v5                                       // 000000006B0C: 7E0A4505
	v_rcp_f32_e32 v6, v6                                       // 000000006B10: 7E0C4506
	v_rcp_f32_e32 v7, v7                                       // 000000006B14: 7E0E4507
	v_mul_f32_e32 v108, v108, v4                               // 000000006B18: 0AD8096C
	v_mul_f32_e32 v109, v109, v5                               // 000000006B1C: 0ADA0B6D
	v_mul_f32_e32 v110, v110, v6                               // 000000006B20: 0ADC0D6E
	v_mul_f32_e32 v111, v111, v7                               // 000000006B24: 0ADE0F6F
	v_mul_f32_e32 v108, v108, v164                             // 000000006B28: 0AD9496C
	v_mul_f32_e32 v109, v109, v165                             // 000000006B2C: 0ADB4B6D
	v_mul_f32_e32 v110, v110, v166                             // 000000006B30: 0ADD4D6E
	v_mul_f32_e32 v111, v111, v167                             // 000000006B34: 0ADF4F6F
	v_mul_f32_e64 v4, -v112, s6                                // 000000006B38: D1050004 20000D70
	v_mul_f32_e64 v5, -v113, s6                                // 000000006B40: D1050005 20000D71
	v_mul_f32_e64 v6, -v114, s6                                // 000000006B48: D1050006 20000D72
	v_mul_f32_e64 v7, -v115, s6                                // 000000006B50: D1050007 20000D73
	v_exp_f32_e32 v4, v4                                       // 000000006B58: 7E084104
	v_exp_f32_e32 v5, v5                                       // 000000006B5C: 7E0A4105
	v_exp_f32_e32 v6, v6                                       // 000000006B60: 7E0C4106
	v_exp_f32_e32 v7, v7                                       // 000000006B64: 7E0E4107
	v_add_f32_e64 v4, v4, 1.0                                  // 000000006B68: D1010004 0001E504
	v_add_f32_e64 v5, v5, 1.0                                  // 000000006B70: D1010005 0001E505
	v_add_f32_e64 v6, v6, 1.0                                  // 000000006B78: D1010006 0001E506
	v_add_f32_e64 v7, v7, 1.0                                  // 000000006B80: D1010007 0001E507
	v_rcp_f32_e32 v4, v4                                       // 000000006B88: 7E084504
	v_rcp_f32_e32 v5, v5                                       // 000000006B8C: 7E0A4505
	v_rcp_f32_e32 v6, v6                                       // 000000006B90: 7E0C4506
	v_rcp_f32_e32 v7, v7                                       // 000000006B94: 7E0E4507
	v_mul_f32_e32 v112, v112, v4                               // 000000006B98: 0AE00970
	v_mul_f32_e32 v113, v113, v5                               // 000000006B9C: 0AE20B71
	v_mul_f32_e32 v114, v114, v6                               // 000000006BA0: 0AE40D72
	v_mul_f32_e32 v115, v115, v7                               // 000000006BA4: 0AE60F73
	v_mul_f32_e32 v112, v112, v168                             // 000000006BA8: 0AE15170
	v_mul_f32_e32 v113, v113, v169                             // 000000006BAC: 0AE35371
	v_mul_f32_e32 v114, v114, v170                             // 000000006BB0: 0AE55572
	v_mul_f32_e32 v115, v115, v171                             // 000000006BB4: 0AE75773
	v_mul_f32_e64 v4, -v116, s6                                // 000000006BB8: D1050004 20000D74
	v_mul_f32_e64 v5, -v117, s6                                // 000000006BC0: D1050005 20000D75
	v_mul_f32_e64 v6, -v118, s6                                // 000000006BC8: D1050006 20000D76
	v_mul_f32_e64 v7, -v119, s6                                // 000000006BD0: D1050007 20000D77
	v_exp_f32_e32 v4, v4                                       // 000000006BD8: 7E084104
	v_exp_f32_e32 v5, v5                                       // 000000006BDC: 7E0A4105
	v_exp_f32_e32 v6, v6                                       // 000000006BE0: 7E0C4106
	v_exp_f32_e32 v7, v7                                       // 000000006BE4: 7E0E4107
	v_add_f32_e64 v4, v4, 1.0                                  // 000000006BE8: D1010004 0001E504
	v_add_f32_e64 v5, v5, 1.0                                  // 000000006BF0: D1010005 0001E505
	v_add_f32_e64 v6, v6, 1.0                                  // 000000006BF8: D1010006 0001E506
	v_add_f32_e64 v7, v7, 1.0                                  // 000000006C00: D1010007 0001E507
	v_rcp_f32_e32 v4, v4                                       // 000000006C08: 7E084504
	v_rcp_f32_e32 v5, v5                                       // 000000006C0C: 7E0A4505
	v_rcp_f32_e32 v6, v6                                       // 000000006C10: 7E0C4506
	v_rcp_f32_e32 v7, v7                                       // 000000006C14: 7E0E4507
	v_mul_f32_e32 v116, v116, v4                               // 000000006C18: 0AE80974
	v_mul_f32_e32 v117, v117, v5                               // 000000006C1C: 0AEA0B75
	v_mul_f32_e32 v118, v118, v6                               // 000000006C20: 0AEC0D76
	v_mul_f32_e32 v119, v119, v7                               // 000000006C24: 0AEE0F77
	v_mul_f32_e32 v116, v116, v172                             // 000000006C28: 0AE95974
	v_mul_f32_e32 v117, v117, v173                             // 000000006C2C: 0AEB5B75
	v_mul_f32_e32 v118, v118, v174                             // 000000006C30: 0AED5D76
	v_mul_f32_e32 v119, v119, v175                             // 000000006C34: 0AEF5F77
	v_mul_f32_e64 v4, -v120, s6                                // 000000006C38: D1050004 20000D78
	v_mul_f32_e64 v5, -v121, s6                                // 000000006C40: D1050005 20000D79
	v_mul_f32_e64 v6, -v122, s6                                // 000000006C48: D1050006 20000D7A
	v_mul_f32_e64 v7, -v123, s6                                // 000000006C50: D1050007 20000D7B
	v_exp_f32_e32 v4, v4                                       // 000000006C58: 7E084104
	v_exp_f32_e32 v5, v5                                       // 000000006C5C: 7E0A4105
	v_exp_f32_e32 v6, v6                                       // 000000006C60: 7E0C4106
	v_exp_f32_e32 v7, v7                                       // 000000006C64: 7E0E4107
	v_add_f32_e64 v4, v4, 1.0                                  // 000000006C68: D1010004 0001E504
	v_add_f32_e64 v5, v5, 1.0                                  // 000000006C70: D1010005 0001E505
	v_add_f32_e64 v6, v6, 1.0                                  // 000000006C78: D1010006 0001E506
	v_add_f32_e64 v7, v7, 1.0                                  // 000000006C80: D1010007 0001E507
	v_rcp_f32_e32 v4, v4                                       // 000000006C88: 7E084504
	v_rcp_f32_e32 v5, v5                                       // 000000006C8C: 7E0A4505
	v_rcp_f32_e32 v6, v6                                       // 000000006C90: 7E0C4506
	v_rcp_f32_e32 v7, v7                                       // 000000006C94: 7E0E4507
	v_mul_f32_e32 v120, v120, v4                               // 000000006C98: 0AF00978
	v_mul_f32_e32 v121, v121, v5                               // 000000006C9C: 0AF20B79
	v_mul_f32_e32 v122, v122, v6                               // 000000006CA0: 0AF40D7A
	v_mul_f32_e32 v123, v123, v7                               // 000000006CA4: 0AF60F7B
	v_mul_f32_e32 v120, v120, v176                             // 000000006CA8: 0AF16178
	v_mul_f32_e32 v121, v121, v177                             // 000000006CAC: 0AF36379
	v_mul_f32_e32 v122, v122, v178                             // 000000006CB0: 0AF5657A
	v_mul_f32_e32 v123, v123, v179                             // 000000006CB4: 0AF7677B
	v_mul_f32_e64 v4, -v124, s6                                // 000000006CB8: D1050004 20000D7C
	v_mul_f32_e64 v5, -v125, s6                                // 000000006CC0: D1050005 20000D7D
	v_mul_f32_e64 v6, -v126, s6                                // 000000006CC8: D1050006 20000D7E
	v_mul_f32_e64 v7, -v127, s6                                // 000000006CD0: D1050007 20000D7F
	v_exp_f32_e32 v4, v4                                       // 000000006CD8: 7E084104
	v_exp_f32_e32 v5, v5                                       // 000000006CDC: 7E0A4105
	v_exp_f32_e32 v6, v6                                       // 000000006CE0: 7E0C4106
	v_exp_f32_e32 v7, v7                                       // 000000006CE4: 7E0E4107
	v_add_f32_e64 v4, v4, 1.0                                  // 000000006CE8: D1010004 0001E504
	v_add_f32_e64 v5, v5, 1.0                                  // 000000006CF0: D1010005 0001E505
	v_add_f32_e64 v6, v6, 1.0                                  // 000000006CF8: D1010006 0001E506
	v_add_f32_e64 v7, v7, 1.0                                  // 000000006D00: D1010007 0001E507
	v_rcp_f32_e32 v4, v4                                       // 000000006D08: 7E084504
	v_rcp_f32_e32 v5, v5                                       // 000000006D0C: 7E0A4505
	v_rcp_f32_e32 v6, v6                                       // 000000006D10: 7E0C4506
	v_rcp_f32_e32 v7, v7                                       // 000000006D14: 7E0E4507
	v_mul_f32_e32 v124, v124, v4                               // 000000006D18: 0AF8097C
	v_mul_f32_e32 v125, v125, v5                               // 000000006D1C: 0AFA0B7D
	v_mul_f32_e32 v126, v126, v6                               // 000000006D20: 0AFC0D7E
	v_mul_f32_e32 v127, v127, v7                               // 000000006D24: 0AFE0F7F
	v_mul_f32_e32 v124, v124, v180                             // 000000006D28: 0AF9697C
	v_mul_f32_e32 v125, v125, v181                             // 000000006D2C: 0AFB6B7D
	v_mul_f32_e32 v126, v126, v182                             // 000000006D30: 0AFD6D7E
	v_mul_f32_e32 v127, v127, v183                             // 000000006D34: 0AFF6F7F
	v_mul_f32_e64 v4, -v128, s6                                // 000000006D38: D1050004 20000D80
	v_mul_f32_e64 v5, -v129, s6                                // 000000006D40: D1050005 20000D81
	v_mul_f32_e64 v6, -v130, s6                                // 000000006D48: D1050006 20000D82
	v_mul_f32_e64 v7, -v131, s6                                // 000000006D50: D1050007 20000D83
	v_exp_f32_e32 v4, v4                                       // 000000006D58: 7E084104
	v_exp_f32_e32 v5, v5                                       // 000000006D5C: 7E0A4105
	v_exp_f32_e32 v6, v6                                       // 000000006D60: 7E0C4106
	v_exp_f32_e32 v7, v7                                       // 000000006D64: 7E0E4107
	v_add_f32_e64 v4, v4, 1.0                                  // 000000006D68: D1010004 0001E504
	v_add_f32_e64 v5, v5, 1.0                                  // 000000006D70: D1010005 0001E505
	v_add_f32_e64 v6, v6, 1.0                                  // 000000006D78: D1010006 0001E506
	v_add_f32_e64 v7, v7, 1.0                                  // 000000006D80: D1010007 0001E507
	v_rcp_f32_e32 v4, v4                                       // 000000006D88: 7E084504
	v_rcp_f32_e32 v5, v5                                       // 000000006D8C: 7E0A4505
	v_rcp_f32_e32 v6, v6                                       // 000000006D90: 7E0C4506
	v_rcp_f32_e32 v7, v7                                       // 000000006D94: 7E0E4507
	v_mul_f32_e32 v128, v128, v4                               // 000000006D98: 0B000980
	v_mul_f32_e32 v129, v129, v5                               // 000000006D9C: 0B020B81
	v_mul_f32_e32 v130, v130, v6                               // 000000006DA0: 0B040D82
	v_mul_f32_e32 v131, v131, v7                               // 000000006DA4: 0B060F83
	v_mul_f32_e32 v128, v128, v184                             // 000000006DA8: 0B017180
	v_mul_f32_e32 v129, v129, v185                             // 000000006DAC: 0B037381
	v_mul_f32_e32 v130, v130, v186                             // 000000006DB0: 0B057582
	v_mul_f32_e32 v131, v131, v187                             // 000000006DB4: 0B077783

0000000000006db8 <label_10EE>:
	v_cmp_u_f32_e64 s[46:47], v76, v76                         // 000000006DB8: D048002E 0002994C
	v_add3_u32 v16, v76, v19, 1                                // 000000006DC0: D1FF0010 0206274C
	v_cndmask_b32_e64 v4, v16, v18, s[46:47]                   // 000000006DC8: D1000004 00BA2510
	v_cmp_u_f32_e64 s[46:47], v77, v77                         // 000000006DD0: D048002E 00029B4D
	v_add3_u32 v16, v77, v19, 1                                // 000000006DD8: D1FF0010 0206274D
	v_cndmask_b32_e64 v5, v16, v18, s[46:47]                   // 000000006DE0: D1000005 00BA2510
	v_perm_b32 v76, v5, v4, s52                                // 000000006DE8: D1ED004C 00D20905
	v_cmp_u_f32_e64 s[46:47], v78, v78                         // 000000006DF0: D048002E 00029D4E
	v_add3_u32 v16, v78, v19, 1                                // 000000006DF8: D1FF0010 0206274E
	v_cndmask_b32_e64 v4, v16, v18, s[46:47]                   // 000000006E00: D1000004 00BA2510
	v_cmp_u_f32_e64 s[46:47], v79, v79                         // 000000006E08: D048002E 00029F4F
	v_add3_u32 v16, v79, v19, 1                                // 000000006E10: D1FF0010 0206274F
	v_cndmask_b32_e64 v5, v16, v18, s[46:47]                   // 000000006E18: D1000005 00BA2510
	v_perm_b32 v77, v5, v4, s52                                // 000000006E20: D1ED004D 00D20905
	v_cmp_u_f32_e64 s[46:47], v80, v80                         // 000000006E28: D048002E 0002A150
	v_add3_u32 v16, v80, v19, 1                                // 000000006E30: D1FF0010 02062750
	v_cndmask_b32_e64 v4, v16, v18, s[46:47]                   // 000000006E38: D1000004 00BA2510
	v_cmp_u_f32_e64 s[46:47], v81, v81                         // 000000006E40: D048002E 0002A351
	v_add3_u32 v16, v81, v19, 1                                // 000000006E48: D1FF0010 02062751
	v_cndmask_b32_e64 v5, v16, v18, s[46:47]                   // 000000006E50: D1000005 00BA2510
	v_perm_b32 v78, v5, v4, s52                                // 000000006E58: D1ED004E 00D20905
	v_cmp_u_f32_e64 s[46:47], v82, v82                         // 000000006E60: D048002E 0002A552
	v_add3_u32 v16, v82, v19, 1                                // 000000006E68: D1FF0010 02062752
	v_cndmask_b32_e64 v4, v16, v18, s[46:47]                   // 000000006E70: D1000004 00BA2510
	v_cmp_u_f32_e64 s[46:47], v83, v83                         // 000000006E78: D048002E 0002A753
	v_add3_u32 v16, v83, v19, 1                                // 000000006E80: D1FF0010 02062753
	v_cndmask_b32_e64 v5, v16, v18, s[46:47]                   // 000000006E88: D1000005 00BA2510
	v_perm_b32 v79, v5, v4, s52                                // 000000006E90: D1ED004F 00D20905
	v_cmp_u_f32_e64 s[46:47], v84, v84                         // 000000006E98: D048002E 0002A954
	v_add3_u32 v16, v84, v19, 1                                // 000000006EA0: D1FF0010 02062754
	v_cndmask_b32_e64 v4, v16, v18, s[46:47]                   // 000000006EA8: D1000004 00BA2510
	v_cmp_u_f32_e64 s[46:47], v85, v85                         // 000000006EB0: D048002E 0002AB55
	v_add3_u32 v16, v85, v19, 1                                // 000000006EB8: D1FF0010 02062755
	v_cndmask_b32_e64 v5, v16, v18, s[46:47]                   // 000000006EC0: D1000005 00BA2510
	v_perm_b32 v80, v5, v4, s52                                // 000000006EC8: D1ED0050 00D20905
	v_cmp_u_f32_e64 s[46:47], v86, v86                         // 000000006ED0: D048002E 0002AD56
	v_add3_u32 v16, v86, v19, 1                                // 000000006ED8: D1FF0010 02062756
	v_cndmask_b32_e64 v4, v16, v18, s[46:47]                   // 000000006EE0: D1000004 00BA2510
	v_cmp_u_f32_e64 s[46:47], v87, v87                         // 000000006EE8: D048002E 0002AF57
	v_add3_u32 v16, v87, v19, 1                                // 000000006EF0: D1FF0010 02062757
	v_cndmask_b32_e64 v5, v16, v18, s[46:47]                   // 000000006EF8: D1000005 00BA2510
	v_perm_b32 v81, v5, v4, s52                                // 000000006F00: D1ED0051 00D20905
	v_cmp_u_f32_e64 s[46:47], v88, v88                         // 000000006F08: D048002E 0002B158
	v_add3_u32 v16, v88, v19, 1                                // 000000006F10: D1FF0010 02062758
	v_cndmask_b32_e64 v4, v16, v18, s[46:47]                   // 000000006F18: D1000004 00BA2510
	v_cmp_u_f32_e64 s[46:47], v89, v89                         // 000000006F20: D048002E 0002B359
	v_add3_u32 v16, v89, v19, 1                                // 000000006F28: D1FF0010 02062759
	v_cndmask_b32_e64 v5, v16, v18, s[46:47]                   // 000000006F30: D1000005 00BA2510
	v_perm_b32 v82, v5, v4, s52                                // 000000006F38: D1ED0052 00D20905
	v_cmp_u_f32_e64 s[46:47], v90, v90                         // 000000006F40: D048002E 0002B55A
	v_add3_u32 v16, v90, v19, 1                                // 000000006F48: D1FF0010 0206275A
	v_cndmask_b32_e64 v4, v16, v18, s[46:47]                   // 000000006F50: D1000004 00BA2510
	v_cmp_u_f32_e64 s[46:47], v91, v91                         // 000000006F58: D048002E 0002B75B
	v_add3_u32 v16, v91, v19, 1                                // 000000006F60: D1FF0010 0206275B
	v_cndmask_b32_e64 v5, v16, v18, s[46:47]                   // 000000006F68: D1000005 00BA2510
	v_perm_b32 v83, v5, v4, s52                                // 000000006F70: D1ED0053 00D20905
	v_cmp_u_f32_e64 s[46:47], v92, v92                         // 000000006F78: D048002E 0002B95C
	v_add3_u32 v16, v92, v19, 1                                // 000000006F80: D1FF0010 0206275C
	v_cndmask_b32_e64 v4, v16, v18, s[46:47]                   // 000000006F88: D1000004 00BA2510
	v_cmp_u_f32_e64 s[46:47], v93, v93                         // 000000006F90: D048002E 0002BB5D
	v_add3_u32 v16, v93, v19, 1                                // 000000006F98: D1FF0010 0206275D
	v_cndmask_b32_e64 v5, v16, v18, s[46:47]                   // 000000006FA0: D1000005 00BA2510
	v_perm_b32 v84, v5, v4, s52                                // 000000006FA8: D1ED0054 00D20905
	v_cmp_u_f32_e64 s[46:47], v94, v94                         // 000000006FB0: D048002E 0002BD5E
	v_add3_u32 v16, v94, v19, 1                                // 000000006FB8: D1FF0010 0206275E
	v_cndmask_b32_e64 v4, v16, v18, s[46:47]                   // 000000006FC0: D1000004 00BA2510
	v_cmp_u_f32_e64 s[46:47], v95, v95                         // 000000006FC8: D048002E 0002BF5F
	v_add3_u32 v16, v95, v19, 1                                // 000000006FD0: D1FF0010 0206275F
	v_cndmask_b32_e64 v5, v16, v18, s[46:47]                   // 000000006FD8: D1000005 00BA2510
	v_perm_b32 v85, v5, v4, s52                                // 000000006FE0: D1ED0055 00D20905
	v_cmp_u_f32_e64 s[46:47], v96, v96                         // 000000006FE8: D048002E 0002C160
	v_add3_u32 v16, v96, v19, 1                                // 000000006FF0: D1FF0010 02062760
	v_cndmask_b32_e64 v4, v16, v18, s[46:47]                   // 000000006FF8: D1000004 00BA2510
	v_cmp_u_f32_e64 s[46:47], v97, v97                         // 000000007000: D048002E 0002C361
	v_add3_u32 v16, v97, v19, 1                                // 000000007008: D1FF0010 02062761
	v_cndmask_b32_e64 v5, v16, v18, s[46:47]                   // 000000007010: D1000005 00BA2510
	v_perm_b32 v86, v5, v4, s52                                // 000000007018: D1ED0056 00D20905
	v_cmp_u_f32_e64 s[46:47], v98, v98                         // 000000007020: D048002E 0002C562
	v_add3_u32 v16, v98, v19, 1                                // 000000007028: D1FF0010 02062762
	v_cndmask_b32_e64 v4, v16, v18, s[46:47]                   // 000000007030: D1000004 00BA2510
	v_cmp_u_f32_e64 s[46:47], v99, v99                         // 000000007038: D048002E 0002C763
	v_add3_u32 v16, v99, v19, 1                                // 000000007040: D1FF0010 02062763
	v_cndmask_b32_e64 v5, v16, v18, s[46:47]                   // 000000007048: D1000005 00BA2510
	v_perm_b32 v87, v5, v4, s52                                // 000000007050: D1ED0057 00D20905
	v_cmp_u_f32_e64 s[46:47], v100, v100                       // 000000007058: D048002E 0002C964
	v_add3_u32 v16, v100, v19, 1                               // 000000007060: D1FF0010 02062764
	v_cndmask_b32_e64 v4, v16, v18, s[46:47]                   // 000000007068: D1000004 00BA2510
	v_cmp_u_f32_e64 s[46:47], v101, v101                       // 000000007070: D048002E 0002CB65
	v_add3_u32 v16, v101, v19, 1                               // 000000007078: D1FF0010 02062765
	v_cndmask_b32_e64 v5, v16, v18, s[46:47]                   // 000000007080: D1000005 00BA2510
	v_perm_b32 v88, v5, v4, s52                                // 000000007088: D1ED0058 00D20905
	v_cmp_u_f32_e64 s[46:47], v102, v102                       // 000000007090: D048002E 0002CD66
	v_add3_u32 v16, v102, v19, 1                               // 000000007098: D1FF0010 02062766
	v_cndmask_b32_e64 v4, v16, v18, s[46:47]                   // 0000000070A0: D1000004 00BA2510
	v_cmp_u_f32_e64 s[46:47], v103, v103                       // 0000000070A8: D048002E 0002CF67
	v_add3_u32 v16, v103, v19, 1                               // 0000000070B0: D1FF0010 02062767
	v_cndmask_b32_e64 v5, v16, v18, s[46:47]                   // 0000000070B8: D1000005 00BA2510
	v_perm_b32 v89, v5, v4, s52                                // 0000000070C0: D1ED0059 00D20905
	v_cmp_u_f32_e64 s[46:47], v104, v104                       // 0000000070C8: D048002E 0002D168
	v_add3_u32 v16, v104, v19, 1                               // 0000000070D0: D1FF0010 02062768
	v_cndmask_b32_e64 v4, v16, v18, s[46:47]                   // 0000000070D8: D1000004 00BA2510
	v_cmp_u_f32_e64 s[46:47], v105, v105                       // 0000000070E0: D048002E 0002D369
	v_add3_u32 v16, v105, v19, 1                               // 0000000070E8: D1FF0010 02062769
	v_cndmask_b32_e64 v5, v16, v18, s[46:47]                   // 0000000070F0: D1000005 00BA2510
	v_perm_b32 v90, v5, v4, s52                                // 0000000070F8: D1ED005A 00D20905
	v_cmp_u_f32_e64 s[46:47], v106, v106                       // 000000007100: D048002E 0002D56A
	v_add3_u32 v16, v106, v19, 1                               // 000000007108: D1FF0010 0206276A
	v_cndmask_b32_e64 v4, v16, v18, s[46:47]                   // 000000007110: D1000004 00BA2510
	v_cmp_u_f32_e64 s[46:47], v107, v107                       // 000000007118: D048002E 0002D76B
	v_add3_u32 v16, v107, v19, 1                               // 000000007120: D1FF0010 0206276B
	v_cndmask_b32_e64 v5, v16, v18, s[46:47]                   // 000000007128: D1000005 00BA2510
	v_perm_b32 v91, v5, v4, s52                                // 000000007130: D1ED005B 00D20905
	v_cmp_u_f32_e64 s[46:47], v108, v108                       // 000000007138: D048002E 0002D96C
	v_add3_u32 v16, v108, v19, 1                               // 000000007140: D1FF0010 0206276C
	v_cndmask_b32_e64 v4, v16, v18, s[46:47]                   // 000000007148: D1000004 00BA2510
	v_cmp_u_f32_e64 s[46:47], v109, v109                       // 000000007150: D048002E 0002DB6D
	v_add3_u32 v16, v109, v19, 1                               // 000000007158: D1FF0010 0206276D
	v_cndmask_b32_e64 v5, v16, v18, s[46:47]                   // 000000007160: D1000005 00BA2510
	v_perm_b32 v92, v5, v4, s52                                // 000000007168: D1ED005C 00D20905
	v_cmp_u_f32_e64 s[46:47], v110, v110                       // 000000007170: D048002E 0002DD6E
	v_add3_u32 v16, v110, v19, 1                               // 000000007178: D1FF0010 0206276E
	v_cndmask_b32_e64 v4, v16, v18, s[46:47]                   // 000000007180: D1000004 00BA2510
	v_cmp_u_f32_e64 s[46:47], v111, v111                       // 000000007188: D048002E 0002DF6F
	v_add3_u32 v16, v111, v19, 1                               // 000000007190: D1FF0010 0206276F
	v_cndmask_b32_e64 v5, v16, v18, s[46:47]                   // 000000007198: D1000005 00BA2510
	v_perm_b32 v93, v5, v4, s52                                // 0000000071A0: D1ED005D 00D20905
	v_cmp_u_f32_e64 s[46:47], v112, v112                       // 0000000071A8: D048002E 0002E170
	v_add3_u32 v16, v112, v19, 1                               // 0000000071B0: D1FF0010 02062770
	v_cndmask_b32_e64 v4, v16, v18, s[46:47]                   // 0000000071B8: D1000004 00BA2510
	v_cmp_u_f32_e64 s[46:47], v113, v113                       // 0000000071C0: D048002E 0002E371
	v_add3_u32 v16, v113, v19, 1                               // 0000000071C8: D1FF0010 02062771
	v_cndmask_b32_e64 v5, v16, v18, s[46:47]                   // 0000000071D0: D1000005 00BA2510
	v_perm_b32 v94, v5, v4, s52                                // 0000000071D8: D1ED005E 00D20905
	v_cmp_u_f32_e64 s[46:47], v114, v114                       // 0000000071E0: D048002E 0002E572
	v_add3_u32 v16, v114, v19, 1                               // 0000000071E8: D1FF0010 02062772
	v_cndmask_b32_e64 v4, v16, v18, s[46:47]                   // 0000000071F0: D1000004 00BA2510
	v_cmp_u_f32_e64 s[46:47], v115, v115                       // 0000000071F8: D048002E 0002E773
	v_add3_u32 v16, v115, v19, 1                               // 000000007200: D1FF0010 02062773
	v_cndmask_b32_e64 v5, v16, v18, s[46:47]                   // 000000007208: D1000005 00BA2510
	v_perm_b32 v95, v5, v4, s52                                // 000000007210: D1ED005F 00D20905
	v_cmp_u_f32_e64 s[46:47], v116, v116                       // 000000007218: D048002E 0002E974
	v_add3_u32 v16, v116, v19, 1                               // 000000007220: D1FF0010 02062774
	v_cndmask_b32_e64 v4, v16, v18, s[46:47]                   // 000000007228: D1000004 00BA2510
	v_cmp_u_f32_e64 s[46:47], v117, v117                       // 000000007230: D048002E 0002EB75
	v_add3_u32 v16, v117, v19, 1                               // 000000007238: D1FF0010 02062775
	v_cndmask_b32_e64 v5, v16, v18, s[46:47]                   // 000000007240: D1000005 00BA2510
	v_perm_b32 v96, v5, v4, s52                                // 000000007248: D1ED0060 00D20905
	v_cmp_u_f32_e64 s[46:47], v118, v118                       // 000000007250: D048002E 0002ED76
	v_add3_u32 v16, v118, v19, 1                               // 000000007258: D1FF0010 02062776
	v_cndmask_b32_e64 v4, v16, v18, s[46:47]                   // 000000007260: D1000004 00BA2510
	v_cmp_u_f32_e64 s[46:47], v119, v119                       // 000000007268: D048002E 0002EF77
	v_add3_u32 v16, v119, v19, 1                               // 000000007270: D1FF0010 02062777
	v_cndmask_b32_e64 v5, v16, v18, s[46:47]                   // 000000007278: D1000005 00BA2510
	v_perm_b32 v97, v5, v4, s52                                // 000000007280: D1ED0061 00D20905
	v_cmp_u_f32_e64 s[46:47], v120, v120                       // 000000007288: D048002E 0002F178
	v_add3_u32 v16, v120, v19, 1                               // 000000007290: D1FF0010 02062778
	v_cndmask_b32_e64 v4, v16, v18, s[46:47]                   // 000000007298: D1000004 00BA2510
	v_cmp_u_f32_e64 s[46:47], v121, v121                       // 0000000072A0: D048002E 0002F379
	v_add3_u32 v16, v121, v19, 1                               // 0000000072A8: D1FF0010 02062779
	v_cndmask_b32_e64 v5, v16, v18, s[46:47]                   // 0000000072B0: D1000005 00BA2510
	v_perm_b32 v98, v5, v4, s52                                // 0000000072B8: D1ED0062 00D20905
	v_cmp_u_f32_e64 s[46:47], v122, v122                       // 0000000072C0: D048002E 0002F57A
	v_add3_u32 v16, v122, v19, 1                               // 0000000072C8: D1FF0010 0206277A
	v_cndmask_b32_e64 v4, v16, v18, s[46:47]                   // 0000000072D0: D1000004 00BA2510
	v_cmp_u_f32_e64 s[46:47], v123, v123                       // 0000000072D8: D048002E 0002F77B
	v_add3_u32 v16, v123, v19, 1                               // 0000000072E0: D1FF0010 0206277B
	v_cndmask_b32_e64 v5, v16, v18, s[46:47]                   // 0000000072E8: D1000005 00BA2510
	v_perm_b32 v99, v5, v4, s52                                // 0000000072F0: D1ED0063 00D20905
	v_cmp_u_f32_e64 s[46:47], v124, v124                       // 0000000072F8: D048002E 0002F97C
	v_add3_u32 v16, v124, v19, 1                               // 000000007300: D1FF0010 0206277C
	v_cndmask_b32_e64 v4, v16, v18, s[46:47]                   // 000000007308: D1000004 00BA2510
	v_cmp_u_f32_e64 s[46:47], v125, v125                       // 000000007310: D048002E 0002FB7D
	v_add3_u32 v16, v125, v19, 1                               // 000000007318: D1FF0010 0206277D
	v_cndmask_b32_e64 v5, v16, v18, s[46:47]                   // 000000007320: D1000005 00BA2510
	v_perm_b32 v100, v5, v4, s52                               // 000000007328: D1ED0064 00D20905
	v_cmp_u_f32_e64 s[46:47], v126, v126                       // 000000007330: D048002E 0002FD7E
	v_add3_u32 v16, v126, v19, 1                               // 000000007338: D1FF0010 0206277E
	v_cndmask_b32_e64 v4, v16, v18, s[46:47]                   // 000000007340: D1000004 00BA2510
	v_cmp_u_f32_e64 s[46:47], v127, v127                       // 000000007348: D048002E 0002FF7F
	v_add3_u32 v16, v127, v19, 1                               // 000000007350: D1FF0010 0206277F
	v_cndmask_b32_e64 v5, v16, v18, s[46:47]                   // 000000007358: D1000005 00BA2510
	v_perm_b32 v101, v5, v4, s52                               // 000000007360: D1ED0065 00D20905
	v_cmp_u_f32_e64 s[46:47], v128, v128                       // 000000007368: D048002E 00030180
	v_add3_u32 v16, v128, v19, 1                               // 000000007370: D1FF0010 02062780
	v_cndmask_b32_e64 v4, v16, v18, s[46:47]                   // 000000007378: D1000004 00BA2510
	v_cmp_u_f32_e64 s[46:47], v129, v129                       // 000000007380: D048002E 00030381
	v_add3_u32 v16, v129, v19, 1                               // 000000007388: D1FF0010 02062781
	v_cndmask_b32_e64 v5, v16, v18, s[46:47]                   // 000000007390: D1000005 00BA2510
	v_perm_b32 v102, v5, v4, s52                               // 000000007398: D1ED0066 00D20905
	v_cmp_u_f32_e64 s[46:47], v130, v130                       // 0000000073A0: D048002E 00030582
	v_add3_u32 v16, v130, v19, 1                               // 0000000073A8: D1FF0010 02062782
	v_cndmask_b32_e64 v4, v16, v18, s[46:47]                   // 0000000073B0: D1000004 00BA2510
	v_cmp_u_f32_e64 s[46:47], v131, v131                       // 0000000073B8: D048002E 00030783
	v_add3_u32 v16, v131, v19, 1                               // 0000000073C0: D1FF0010 02062783
	v_cndmask_b32_e64 v5, v16, v18, s[46:47]                   // 0000000073C8: D1000005 00BA2510
	v_perm_b32 v103, v5, v4, s52                               // 0000000073D0: D1ED0067 00D20905
	ds_write_b64 v20, v[76:77]                                 // 0000000073D8: D89A0000 00004C14
	ds_write_b64 v20, v[78:79] offset:4352                     // 0000000073E0: D89A1100 00004E14
	ds_write_b64 v20, v[80:81] offset:8704                     // 0000000073E8: D89A2200 00005014
	ds_write_b64 v20, v[82:83] offset:13056                    // 0000000073F0: D89A3300 00005214
	ds_write_b64 v20, v[84:85] offset:17408                    // 0000000073F8: D89A4400 00005414
	ds_write_b64 v20, v[86:87] offset:21760                    // 000000007400: D89A5500 00005614
	ds_write_b64 v20, v[88:89] offset:26112                    // 000000007408: D89A6600 00005814
	ds_write_b64 v20, v[90:91] offset:2176                     // 000000007410: D89A0880 00005A14
	ds_write_b64 v20, v[92:93] offset:6528                     // 000000007418: D89A1980 00005C14
	ds_write_b64 v20, v[94:95] offset:10880                    // 000000007420: D89A2A80 00005E14
	ds_write_b64 v20, v[96:97] offset:15232                    // 000000007428: D89A3B80 00006014
	ds_write_b64 v20, v[98:99] offset:19584                    // 000000007430: D89A4C80 00006214
	ds_write_b64 v20, v[100:101] offset:23936                  // 000000007438: D89A5D80 00006414
	ds_write_b64 v20, v[102:103] offset:28288                  // 000000007440: D89A6E80 00006614
	v_lshrrev_b32_e32 v4, 5, v0                                // 000000007448: 20080085
	v_xor_b32_e32 v5, 1, v4                                    // 00000000744C: 2A0A0881
	s_mul_i32 s60, s65, 2                                      // 000000007450: 923C8241
	s_cmp_eq_u32 s88, 0                                        // 000000007454: BF068058
	s_cselect_b32 s61, 1, 4                                    // 000000007458: 853D8481
	s_mul_i32 s60, s61, s60                                    // 00000000745C: 923C3C3D
	v_readlane_b32 s82, v3, 0                                  // 000000007460: D2890052 00010103
	s_lshr_b32 s61, s82, 24                                    // 000000007468: 8F3D9852
	s_and_b32 s82, s82, 0xffffff                               // 00000000746C: 8652FF52 00FFFFFF
	s_mul_i32 s82, s82, s71                                    // 000000007474: 92524752
	s_mul_i32 s61, s60, s61                                    // 000000007478: 923D3D3C
	s_add_u32 s82, s82, s61                                    // 00000000747C: 80523D52
	v_mul_lo_u32 v6, v5, s82                                   // 000000007480: D2850006 0000A505
	v_readlane_b32 s82, v3, 1                                  // 000000007488: D2890052 00010303
	s_lshr_b32 s61, s82, 24                                    // 000000007490: 8F3D9852
	s_and_b32 s82, s82, 0xffffff                               // 000000007494: 8652FF52 00FFFFFF
	s_mul_i32 s82, s82, s71                                    // 00000000749C: 92524752
	s_mul_i32 s61, s60, s61                                    // 0000000074A0: 923D3D3C
	s_add_u32 s82, s82, s61                                    // 0000000074A4: 80523D52
	v_mul_lo_u32 v7, v4, s82                                   // 0000000074A8: D2850007 0000A504
	v_add_u32_e32 v58, v6, v7                                  // 0000000074B0: 68740F06
	v_readlane_b32 s82, v3, 2                                  // 0000000074B4: D2890052 00010503
	s_lshr_b32 s61, s82, 24                                    // 0000000074BC: 8F3D9852
	s_and_b32 s82, s82, 0xffffff                               // 0000000074C0: 8652FF52 00FFFFFF
	s_mul_i32 s82, s82, s71                                    // 0000000074C8: 92524752
	s_mul_i32 s61, s60, s61                                    // 0000000074CC: 923D3D3C
	s_add_u32 s82, s82, s61                                    // 0000000074D0: 80523D52
	v_mul_lo_u32 v6, v5, s82                                   // 0000000074D4: D2850006 0000A505
	v_readlane_b32 s82, v3, 3                                  // 0000000074DC: D2890052 00010703
	s_lshr_b32 s61, s82, 24                                    // 0000000074E4: 8F3D9852
	s_and_b32 s82, s82, 0xffffff                               // 0000000074E8: 8652FF52 00FFFFFF
	s_mul_i32 s82, s82, s71                                    // 0000000074F0: 92524752
	s_mul_i32 s61, s60, s61                                    // 0000000074F4: 923D3D3C
	s_add_u32 s82, s82, s61                                    // 0000000074F8: 80523D52
	v_mul_lo_u32 v7, v4, s82                                   // 0000000074FC: D2850007 0000A504
	v_add_u32_e32 v59, v6, v7                                  // 000000007504: 68760F06
	v_readlane_b32 s82, v3, 4                                  // 000000007508: D2890052 00010903
	s_lshr_b32 s61, s82, 24                                    // 000000007510: 8F3D9852
	s_and_b32 s82, s82, 0xffffff                               // 000000007514: 8652FF52 00FFFFFF
	s_mul_i32 s82, s82, s71                                    // 00000000751C: 92524752
	s_mul_i32 s61, s60, s61                                    // 000000007520: 923D3D3C
	s_add_u32 s82, s82, s61                                    // 000000007524: 80523D52
	v_mul_lo_u32 v6, v5, s82                                   // 000000007528: D2850006 0000A505
	v_readlane_b32 s82, v3, 5                                  // 000000007530: D2890052 00010B03
	s_lshr_b32 s61, s82, 24                                    // 000000007538: 8F3D9852
	s_and_b32 s82, s82, 0xffffff                               // 00000000753C: 8652FF52 00FFFFFF
	s_mul_i32 s82, s82, s71                                    // 000000007544: 92524752
	s_mul_i32 s61, s60, s61                                    // 000000007548: 923D3D3C
	s_add_u32 s82, s82, s61                                    // 00000000754C: 80523D52
	v_mul_lo_u32 v7, v4, s82                                   // 000000007550: D2850007 0000A504
	v_add_u32_e32 v60, v6, v7                                  // 000000007558: 68780F06
	v_readlane_b32 s82, v3, 6                                  // 00000000755C: D2890052 00010D03
	s_lshr_b32 s61, s82, 24                                    // 000000007564: 8F3D9852
	s_and_b32 s82, s82, 0xffffff                               // 000000007568: 8652FF52 00FFFFFF
	s_mul_i32 s82, s82, s71                                    // 000000007570: 92524752
	s_mul_i32 s61, s60, s61                                    // 000000007574: 923D3D3C
	s_add_u32 s82, s82, s61                                    // 000000007578: 80523D52
	v_mul_lo_u32 v6, v5, s82                                   // 00000000757C: D2850006 0000A505
	v_readlane_b32 s82, v3, 7                                  // 000000007584: D2890052 00010F03
	s_lshr_b32 s61, s82, 24                                    // 00000000758C: 8F3D9852
	s_and_b32 s82, s82, 0xffffff                               // 000000007590: 8652FF52 00FFFFFF
	s_mul_i32 s82, s82, s71                                    // 000000007598: 92524752
	s_mul_i32 s61, s60, s61                                    // 00000000759C: 923D3D3C
	s_add_u32 s82, s82, s61                                    // 0000000075A0: 80523D52
	v_mul_lo_u32 v7, v4, s82                                   // 0000000075A4: D2850007 0000A504
	v_add_u32_e32 v61, v6, v7                                  // 0000000075AC: 687A0F06
	v_readlane_b32 s82, v3, 8                                  // 0000000075B0: D2890052 00011103
	s_lshr_b32 s61, s82, 24                                    // 0000000075B8: 8F3D9852
	s_and_b32 s82, s82, 0xffffff                               // 0000000075BC: 8652FF52 00FFFFFF
	s_mul_i32 s82, s82, s71                                    // 0000000075C4: 92524752
	s_mul_i32 s61, s60, s61                                    // 0000000075C8: 923D3D3C
	s_add_u32 s82, s82, s61                                    // 0000000075CC: 80523D52
	v_mul_lo_u32 v6, v5, s82                                   // 0000000075D0: D2850006 0000A505
	v_readlane_b32 s82, v3, 9                                  // 0000000075D8: D2890052 00011303
	s_lshr_b32 s61, s82, 24                                    // 0000000075E0: 8F3D9852
	s_and_b32 s82, s82, 0xffffff                               // 0000000075E4: 8652FF52 00FFFFFF
	s_mul_i32 s82, s82, s71                                    // 0000000075EC: 92524752
	s_mul_i32 s61, s60, s61                                    // 0000000075F0: 923D3D3C
	s_add_u32 s82, s82, s61                                    // 0000000075F4: 80523D52
	v_mul_lo_u32 v7, v4, s82                                   // 0000000075F8: D2850007 0000A504
	v_add_u32_e32 v62, v6, v7                                  // 000000007600: 687C0F06
	v_readlane_b32 s82, v3, 10                                 // 000000007604: D2890052 00011503
	s_lshr_b32 s61, s82, 24                                    // 00000000760C: 8F3D9852
	s_and_b32 s82, s82, 0xffffff                               // 000000007610: 8652FF52 00FFFFFF
	s_mul_i32 s82, s82, s71                                    // 000000007618: 92524752
	s_mul_i32 s61, s60, s61                                    // 00000000761C: 923D3D3C
	s_add_u32 s82, s82, s61                                    // 000000007620: 80523D52
	v_mul_lo_u32 v6, v5, s82                                   // 000000007624: D2850006 0000A505
	v_readlane_b32 s82, v3, 11                                 // 00000000762C: D2890052 00011703
	s_lshr_b32 s61, s82, 24                                    // 000000007634: 8F3D9852
	s_and_b32 s82, s82, 0xffffff                               // 000000007638: 8652FF52 00FFFFFF
	s_mul_i32 s82, s82, s71                                    // 000000007640: 92524752
	s_mul_i32 s61, s60, s61                                    // 000000007644: 923D3D3C
	s_add_u32 s82, s82, s61                                    // 000000007648: 80523D52
	v_mul_lo_u32 v7, v4, s82                                   // 00000000764C: D2850007 0000A504
	v_add_u32_e32 v63, v6, v7                                  // 000000007654: 687E0F06
	v_readlane_b32 s82, v3, 12                                 // 000000007658: D2890052 00011903
	s_lshr_b32 s61, s82, 24                                    // 000000007660: 8F3D9852
	s_and_b32 s82, s82, 0xffffff                               // 000000007664: 8652FF52 00FFFFFF
	s_mul_i32 s82, s82, s71                                    // 00000000766C: 92524752
	s_mul_i32 s61, s60, s61                                    // 000000007670: 923D3D3C
	s_add_u32 s82, s82, s61                                    // 000000007674: 80523D52
	v_mul_lo_u32 v6, v5, s82                                   // 000000007678: D2850006 0000A505
	v_readlane_b32 s82, v3, 13                                 // 000000007680: D2890052 00011B03
	s_lshr_b32 s61, s82, 24                                    // 000000007688: 8F3D9852
	s_and_b32 s82, s82, 0xffffff                               // 00000000768C: 8652FF52 00FFFFFF
	s_mul_i32 s82, s82, s71                                    // 000000007694: 92524752
	s_mul_i32 s61, s60, s61                                    // 000000007698: 923D3D3C
	s_add_u32 s82, s82, s61                                    // 00000000769C: 80523D52
	v_mul_lo_u32 v7, v4, s82                                   // 0000000076A0: D2850007 0000A504
	v_add_u32_e32 v64, v6, v7                                  // 0000000076A8: 68800F06
	v_readlane_b32 s82, v3, 14                                 // 0000000076AC: D2890052 00011D03
	s_lshr_b32 s61, s82, 24                                    // 0000000076B4: 8F3D9852
	s_and_b32 s82, s82, 0xffffff                               // 0000000076B8: 8652FF52 00FFFFFF
	s_mul_i32 s82, s82, s71                                    // 0000000076C0: 92524752
	s_mul_i32 s61, s60, s61                                    // 0000000076C4: 923D3D3C
	s_add_u32 s82, s82, s61                                    // 0000000076C8: 80523D52
	v_mul_lo_u32 v6, v5, s82                                   // 0000000076CC: D2850006 0000A505
	v_readlane_b32 s82, v3, 15                                 // 0000000076D4: D2890052 00011F03
	s_lshr_b32 s61, s82, 24                                    // 0000000076DC: 8F3D9852
	s_and_b32 s82, s82, 0xffffff                               // 0000000076E0: 8652FF52 00FFFFFF
	s_mul_i32 s82, s82, s71                                    // 0000000076E8: 92524752
	s_mul_i32 s61, s60, s61                                    // 0000000076EC: 923D3D3C
	s_add_u32 s82, s82, s61                                    // 0000000076F0: 80523D52
	v_mul_lo_u32 v7, v4, s82                                   // 0000000076F4: D2850007 0000A504
	v_add_u32_e32 v65, v6, v7                                  // 0000000076FC: 68820F06
	v_readlane_b32 s82, v3, 16                                 // 000000007700: D2890052 00012103
	s_lshr_b32 s61, s82, 24                                    // 000000007708: 8F3D9852
	s_and_b32 s82, s82, 0xffffff                               // 00000000770C: 8652FF52 00FFFFFF
	s_mul_i32 s82, s82, s71                                    // 000000007714: 92524752
	s_mul_i32 s61, s60, s61                                    // 000000007718: 923D3D3C
	s_add_u32 s82, s82, s61                                    // 00000000771C: 80523D52
	v_mul_lo_u32 v6, v5, s82                                   // 000000007720: D2850006 0000A505
	v_readlane_b32 s82, v3, 17                                 // 000000007728: D2890052 00012303
	s_lshr_b32 s61, s82, 24                                    // 000000007730: 8F3D9852
	s_and_b32 s82, s82, 0xffffff                               // 000000007734: 8652FF52 00FFFFFF
	s_mul_i32 s82, s82, s71                                    // 00000000773C: 92524752
	s_mul_i32 s61, s60, s61                                    // 000000007740: 923D3D3C
	s_add_u32 s82, s82, s61                                    // 000000007744: 80523D52
	v_mul_lo_u32 v7, v4, s82                                   // 000000007748: D2850007 0000A504
	v_add_u32_e32 v66, v6, v7                                  // 000000007750: 68840F06
	v_readlane_b32 s82, v3, 18                                 // 000000007754: D2890052 00012503
	s_lshr_b32 s61, s82, 24                                    // 00000000775C: 8F3D9852
	s_and_b32 s82, s82, 0xffffff                               // 000000007760: 8652FF52 00FFFFFF
	s_mul_i32 s82, s82, s71                                    // 000000007768: 92524752
	s_mul_i32 s61, s60, s61                                    // 00000000776C: 923D3D3C
	s_add_u32 s82, s82, s61                                    // 000000007770: 80523D52
	v_mul_lo_u32 v6, v5, s82                                   // 000000007774: D2850006 0000A505
	v_readlane_b32 s82, v3, 19                                 // 00000000777C: D2890052 00012703
	s_lshr_b32 s61, s82, 24                                    // 000000007784: 8F3D9852
	s_and_b32 s82, s82, 0xffffff                               // 000000007788: 8652FF52 00FFFFFF
	s_mul_i32 s82, s82, s71                                    // 000000007790: 92524752
	s_mul_i32 s61, s60, s61                                    // 000000007794: 923D3D3C
	s_add_u32 s82, s82, s61                                    // 000000007798: 80523D52
	v_mul_lo_u32 v7, v4, s82                                   // 00000000779C: D2850007 0000A504
	v_add_u32_e32 v67, v6, v7                                  // 0000000077A4: 68860F06
	v_readlane_b32 s82, v3, 20                                 // 0000000077A8: D2890052 00012903
	s_lshr_b32 s61, s82, 24                                    // 0000000077B0: 8F3D9852
	s_and_b32 s82, s82, 0xffffff                               // 0000000077B4: 8652FF52 00FFFFFF
	s_mul_i32 s82, s82, s71                                    // 0000000077BC: 92524752
	s_mul_i32 s61, s60, s61                                    // 0000000077C0: 923D3D3C
	s_add_u32 s82, s82, s61                                    // 0000000077C4: 80523D52
	v_mul_lo_u32 v6, v5, s82                                   // 0000000077C8: D2850006 0000A505
	v_readlane_b32 s82, v3, 21                                 // 0000000077D0: D2890052 00012B03
	s_lshr_b32 s61, s82, 24                                    // 0000000077D8: 8F3D9852
	s_and_b32 s82, s82, 0xffffff                               // 0000000077DC: 8652FF52 00FFFFFF
	s_mul_i32 s82, s82, s71                                    // 0000000077E4: 92524752
	s_mul_i32 s61, s60, s61                                    // 0000000077E8: 923D3D3C
	s_add_u32 s82, s82, s61                                    // 0000000077EC: 80523D52
	v_mul_lo_u32 v7, v4, s82                                   // 0000000077F0: D2850007 0000A504
	v_add_u32_e32 v68, v6, v7                                  // 0000000077F8: 68880F06
	v_readlane_b32 s82, v3, 22                                 // 0000000077FC: D2890052 00012D03
	s_lshr_b32 s61, s82, 24                                    // 000000007804: 8F3D9852
	s_and_b32 s82, s82, 0xffffff                               // 000000007808: 8652FF52 00FFFFFF
	s_mul_i32 s82, s82, s71                                    // 000000007810: 92524752
	s_mul_i32 s61, s60, s61                                    // 000000007814: 923D3D3C
	s_add_u32 s82, s82, s61                                    // 000000007818: 80523D52
	v_mul_lo_u32 v6, v5, s82                                   // 00000000781C: D2850006 0000A505
	v_readlane_b32 s82, v3, 23                                 // 000000007824: D2890052 00012F03
	s_lshr_b32 s61, s82, 24                                    // 00000000782C: 8F3D9852
	s_and_b32 s82, s82, 0xffffff                               // 000000007830: 8652FF52 00FFFFFF
	s_mul_i32 s82, s82, s71                                    // 000000007838: 92524752
	s_mul_i32 s61, s60, s61                                    // 00000000783C: 923D3D3C
	s_add_u32 s82, s82, s61                                    // 000000007840: 80523D52
	v_mul_lo_u32 v7, v4, s82                                   // 000000007844: D2850007 0000A504
	v_add_u32_e32 v69, v6, v7                                  // 00000000784C: 688A0F06
	v_readlane_b32 s82, v3, 24                                 // 000000007850: D2890052 00013103
	s_lshr_b32 s61, s82, 24                                    // 000000007858: 8F3D9852
	s_and_b32 s82, s82, 0xffffff                               // 00000000785C: 8652FF52 00FFFFFF
	s_mul_i32 s82, s82, s71                                    // 000000007864: 92524752
	s_mul_i32 s61, s60, s61                                    // 000000007868: 923D3D3C
	s_add_u32 s82, s82, s61                                    // 00000000786C: 80523D52
	v_mul_lo_u32 v6, v5, s82                                   // 000000007870: D2850006 0000A505
	v_readlane_b32 s82, v3, 25                                 // 000000007878: D2890052 00013303
	s_lshr_b32 s61, s82, 24                                    // 000000007880: 8F3D9852
	s_and_b32 s82, s82, 0xffffff                               // 000000007884: 8652FF52 00FFFFFF
	s_mul_i32 s82, s82, s71                                    // 00000000788C: 92524752
	s_mul_i32 s61, s60, s61                                    // 000000007890: 923D3D3C
	s_add_u32 s82, s82, s61                                    // 000000007894: 80523D52
	v_mul_lo_u32 v7, v4, s82                                   // 000000007898: D2850007 0000A504
	v_add_u32_e32 v70, v6, v7                                  // 0000000078A0: 688C0F06
	v_readlane_b32 s82, v3, 26                                 // 0000000078A4: D2890052 00013503
	s_lshr_b32 s61, s82, 24                                    // 0000000078AC: 8F3D9852
	s_and_b32 s82, s82, 0xffffff                               // 0000000078B0: 8652FF52 00FFFFFF
	s_mul_i32 s82, s82, s71                                    // 0000000078B8: 92524752
	s_mul_i32 s61, s60, s61                                    // 0000000078BC: 923D3D3C
	s_add_u32 s82, s82, s61                                    // 0000000078C0: 80523D52
	v_mul_lo_u32 v6, v5, s82                                   // 0000000078C4: D2850006 0000A505
	v_readlane_b32 s82, v3, 27                                 // 0000000078CC: D2890052 00013703
	s_lshr_b32 s61, s82, 24                                    // 0000000078D4: 8F3D9852
	s_and_b32 s82, s82, 0xffffff                               // 0000000078D8: 8652FF52 00FFFFFF
	s_mul_i32 s82, s82, s71                                    // 0000000078E0: 92524752
	s_mul_i32 s61, s60, s61                                    // 0000000078E4: 923D3D3C
	s_add_u32 s82, s82, s61                                    // 0000000078E8: 80523D52
	v_mul_lo_u32 v7, v4, s82                                   // 0000000078EC: D2850007 0000A504
	v_add_u32_e32 v71, v6, v7                                  // 0000000078F4: 688E0F06
	v_and_b32_e32 v4, 31, v0                                   // 0000000078F8: 2608009F
	v_lshrrev_b32_e32 v4, 1, v4                                // 0000000078FC: 20080881
	s_cmp_eq_u32 s88, 0                                        // 000000007900: BF068058
	s_cselect_b32 s61, 2, 4                                    // 000000007904: 853D8482
	v_mul_lo_u32 v4, v4, s61                                   // 000000007908: D2850004 00007B04
	v_and_b32_e64 v5, v0, 1                                    // 000000007910: D1130005 00010300
	v_add_u32_e32 v4, v4, v5                                   // 000000007918: 68080B04
	v_lshlrev_b32_e32 v4, 2, v4                                // 00000000791C: 24080882
	v_add_u32_e32 v58, v58, v4                                 // 000000007920: 6874093A
	v_add_u32_e32 v59, v59, v4                                 // 000000007924: 6876093B
	v_add_u32_e32 v60, v60, v4                                 // 000000007928: 6878093C
	v_add_u32_e32 v61, v61, v4                                 // 00000000792C: 687A093D
	v_add_u32_e32 v62, v62, v4                                 // 000000007930: 687C093E
	v_add_u32_e32 v63, v63, v4                                 // 000000007934: 687E093F
	v_add_u32_e32 v64, v64, v4                                 // 000000007938: 68800940
	v_add_u32_e32 v65, v65, v4                                 // 00000000793C: 68820941
	v_add_u32_e32 v66, v66, v4                                 // 000000007940: 68840942
	v_add_u32_e32 v67, v67, v4                                 // 000000007944: 68860943
	;; [unrolled: 1-line block ×3, first 2 shown]
	v_add_u32_e32 v69, v69, v4                                 // 00000000794C: 688A0945
	v_add_u32_e32 v70, v70, v4                                 // 000000007950: 688C0946
	v_add_u32_e32 v71, v71, v4                                 // 000000007954: 688E0947
	s_waitcnt lgkmcnt(0)                                       // 000000007958: BF8CC07F
	s_barrier                                                  // 00000000795C: BF8A0000
	ds_read_b32 v76, v21                                       // 000000007960: D86C0000 4C000015
	ds_read_b32 v77, v21 offset:64                             // 000000007968: D86C0040 4D000015
	ds_read_b32 v78, v21 offset:2176                           // 000000007970: D86C0880 4E000015
	ds_read_b32 v79, v21 offset:2240                           // 000000007978: D86C08C0 4F000015
	ds_read_b32 v80, v21 offset:4352                           // 000000007980: D86C1100 50000015
	ds_read_b32 v81, v21 offset:4416                           // 000000007988: D86C1140 51000015
	ds_read_b32 v82, v21 offset:6528                           // 000000007990: D86C1980 52000015
	ds_read_b32 v83, v21 offset:6592                           // 000000007998: D86C19C0 53000015
	ds_read_b32 v84, v21 offset:8704                           // 0000000079A0: D86C2200 54000015
	ds_read_b32 v85, v21 offset:8768                           // 0000000079A8: D86C2240 55000015
	ds_read_b32 v86, v21 offset:10880                          // 0000000079B0: D86C2A80 56000015
	ds_read_b32 v87, v21 offset:10944                          // 0000000079B8: D86C2AC0 57000015
	ds_read_b32 v88, v21 offset:13056                          // 0000000079C0: D86C3300 58000015
	ds_read_b32 v89, v21 offset:13120                          // 0000000079C8: D86C3340 59000015
	ds_read_b32 v90, v21 offset:15232                          // 0000000079D0: D86C3B80 5A000015
	ds_read_b32 v91, v21 offset:15296                          // 0000000079D8: D86C3BC0 5B000015
	ds_read_b32 v92, v21 offset:17408                          // 0000000079E0: D86C4400 5C000015
	ds_read_b32 v93, v21 offset:17472                          // 0000000079E8: D86C4440 5D000015
	ds_read_b32 v94, v21 offset:19584                          // 0000000079F0: D86C4C80 5E000015
	ds_read_b32 v95, v21 offset:19648                          // 0000000079F8: D86C4CC0 5F000015
	ds_read_b32 v96, v21 offset:21760                          // 000000007A00: D86C5500 60000015
	ds_read_b32 v97, v21 offset:21824                          // 000000007A08: D86C5540 61000015
	ds_read_b32 v98, v21 offset:23936                          // 000000007A10: D86C5D80 62000015
	ds_read_b32 v99, v21 offset:24000                          // 000000007A18: D86C5DC0 63000015
	ds_read_b32 v100, v21 offset:26112                         // 000000007A20: D86C6600 64000015
	ds_read_b32 v101, v21 offset:26176                         // 000000007A28: D86C6640 65000015
	ds_read_b32 v102, v21 offset:28288                         // 000000007A30: D86C6E80 66000015
	ds_read_b32 v103, v21 offset:28352                         // 000000007A38: D86C6EC0 67000015
	s_waitcnt lgkmcnt(0)                                       // 000000007A40: BF8CC07F
	s_mov_b32 s36, -1                                          // 000000007A44: BEA400C1
	s_mov_b32 s37, -1                                          // 000000007A48: BEA500C1
	v_mov_b32_e32 v7, 0                                        // 000000007A4C: 7E0E0280
	s_or_b32 s9, s9, 0x40000                                   // 000000007A50: 8709FF09 00040000
	s_mov_b64 exec, s[36:37]                                   // 000000007A58: BEFE0124
	v_mov_b32_e32 v6, v58                                      // 000000007A5C: 7E0C033A
	s_mov_b64 s[60:61], 0                                      // 000000007A60: BEBC0180
	v_readlane_b32 s82, v3, 0                                  // 000000007A64: D2890052 00010103
	s_and_b32 s82, s82, 0xffffff                               // 000000007A6C: 8652FF52 00FFFFFF
	s_cmp_lt_u32 s82, s66                                      // 000000007A74: BF0A4252
	s_cselect_b32 s20, s36, s60                                // 000000007A78: 85143C24
	v_readlane_b32 s82, v3, 1                                  // 000000007A7C: D2890052 00010303
	s_and_b32 s82, s82, 0xffffff                               // 000000007A84: 8652FF52 00FFFFFF
	s_cmp_lt_u32 s82, s66                                      // 000000007A8C: BF0A4252
	s_cselect_b32 s21, s36, s60                                // 000000007A90: 85153C24
	s_mov_b64 exec, s[20:21]                                   // 000000007A94: BEFE0114
	buffer_store_dword v76, v6, s[8:11], 0 offen               // 000000007A98: E0701000 80024C06
	buffer_store_dword v78, v6, s[8:11], 0 offen offset:128    // 000000007AA0: E0701080 80024E06
	s_mov_b64 exec, s[36:37]                                   // 000000007AA8: BEFE0124
	v_mov_b32_e32 v6, v59                                      // 000000007AAC: 7E0C033B
	s_mov_b64 s[60:61], 0                                      // 000000007AB0: BEBC0180
	v_readlane_b32 s82, v3, 2                                  // 000000007AB4: D2890052 00010503
	s_and_b32 s82, s82, 0xffffff                               // 000000007ABC: 8652FF52 00FFFFFF
	s_cmp_lt_u32 s82, s66                                      // 000000007AC4: BF0A4252
	s_cselect_b32 s20, s36, s60                                // 000000007AC8: 85143C24
	v_readlane_b32 s82, v3, 3                                  // 000000007ACC: D2890052 00010703
	s_and_b32 s82, s82, 0xffffff                               // 000000007AD4: 8652FF52 00FFFFFF
	s_cmp_lt_u32 s82, s66                                      // 000000007ADC: BF0A4252
	s_cselect_b32 s21, s36, s60                                // 000000007AE0: 85153C24
	s_mov_b64 exec, s[20:21]                                   // 000000007AE4: BEFE0114
	buffer_store_dword v77, v6, s[8:11], 0 offen               // 000000007AE8: E0701000 80024D06
	buffer_store_dword v79, v6, s[8:11], 0 offen offset:128    // 000000007AF0: E0701080 80024F06
	s_mov_b64 exec, s[36:37]                                   // 000000007AF8: BEFE0124
	v_mov_b32_e32 v6, v60                                      // 000000007AFC: 7E0C033C
	s_mov_b64 s[60:61], 0                                      // 000000007B00: BEBC0180
	v_readlane_b32 s82, v3, 4                                  // 000000007B04: D2890052 00010903
	s_and_b32 s82, s82, 0xffffff                               // 000000007B0C: 8652FF52 00FFFFFF
	s_cmp_lt_u32 s82, s66                                      // 000000007B14: BF0A4252
	s_cselect_b32 s20, s36, s60                                // 000000007B18: 85143C24
	v_readlane_b32 s82, v3, 5                                  // 000000007B1C: D2890052 00010B03
	s_and_b32 s82, s82, 0xffffff                               // 000000007B24: 8652FF52 00FFFFFF
	s_cmp_lt_u32 s82, s66                                      // 000000007B2C: BF0A4252
	s_cselect_b32 s21, s36, s60                                // 000000007B30: 85153C24
	s_mov_b64 exec, s[20:21]                                   // 000000007B34: BEFE0114
	buffer_store_dword v80, v6, s[8:11], 0 offen               // 000000007B38: E0701000 80025006
	buffer_store_dword v82, v6, s[8:11], 0 offen offset:128    // 000000007B40: E0701080 80025206
	s_mov_b64 exec, s[36:37]                                   // 000000007B48: BEFE0124
	v_mov_b32_e32 v6, v61                                      // 000000007B4C: 7E0C033D
	s_mov_b64 s[60:61], 0                                      // 000000007B50: BEBC0180
	v_readlane_b32 s82, v3, 6                                  // 000000007B54: D2890052 00010D03
	s_and_b32 s82, s82, 0xffffff                               // 000000007B5C: 8652FF52 00FFFFFF
	s_cmp_lt_u32 s82, s66                                      // 000000007B64: BF0A4252
	s_cselect_b32 s20, s36, s60                                // 000000007B68: 85143C24
	v_readlane_b32 s82, v3, 7                                  // 000000007B6C: D2890052 00010F03
	s_and_b32 s82, s82, 0xffffff                               // 000000007B74: 8652FF52 00FFFFFF
	s_cmp_lt_u32 s82, s66                                      // 000000007B7C: BF0A4252
	s_cselect_b32 s21, s36, s60                                // 000000007B80: 85153C24
	s_mov_b64 exec, s[20:21]                                   // 000000007B84: BEFE0114
	buffer_store_dword v81, v6, s[8:11], 0 offen               // 000000007B88: E0701000 80025106
	buffer_store_dword v83, v6, s[8:11], 0 offen offset:128    // 000000007B90: E0701080 80025306
	s_mov_b64 exec, s[36:37]                                   // 000000007B98: BEFE0124
	v_mov_b32_e32 v6, v62                                      // 000000007B9C: 7E0C033E
	s_mov_b64 s[60:61], 0                                      // 000000007BA0: BEBC0180
	v_readlane_b32 s82, v3, 8                                  // 000000007BA4: D2890052 00011103
	s_and_b32 s82, s82, 0xffffff                               // 000000007BAC: 8652FF52 00FFFFFF
	s_cmp_lt_u32 s82, s66                                      // 000000007BB4: BF0A4252
	s_cselect_b32 s20, s36, s60                                // 000000007BB8: 85143C24
	v_readlane_b32 s82, v3, 9                                  // 000000007BBC: D2890052 00011303
	s_and_b32 s82, s82, 0xffffff                               // 000000007BC4: 8652FF52 00FFFFFF
	s_cmp_lt_u32 s82, s66                                      // 000000007BCC: BF0A4252
	s_cselect_b32 s21, s36, s60                                // 000000007BD0: 85153C24
	s_mov_b64 exec, s[20:21]                                   // 000000007BD4: BEFE0114
	buffer_store_dword v84, v6, s[8:11], 0 offen               // 000000007BD8: E0701000 80025406
	buffer_store_dword v86, v6, s[8:11], 0 offen offset:128    // 000000007BE0: E0701080 80025606
	s_mov_b64 exec, s[36:37]                                   // 000000007BE8: BEFE0124
	v_mov_b32_e32 v6, v63                                      // 000000007BEC: 7E0C033F
	s_mov_b64 s[60:61], 0                                      // 000000007BF0: BEBC0180
	v_readlane_b32 s82, v3, 10                                 // 000000007BF4: D2890052 00011503
	s_and_b32 s82, s82, 0xffffff                               // 000000007BFC: 8652FF52 00FFFFFF
	s_cmp_lt_u32 s82, s66                                      // 000000007C04: BF0A4252
	s_cselect_b32 s20, s36, s60                                // 000000007C08: 85143C24
	v_readlane_b32 s82, v3, 11                                 // 000000007C0C: D2890052 00011703
	s_and_b32 s82, s82, 0xffffff                               // 000000007C14: 8652FF52 00FFFFFF
	s_cmp_lt_u32 s82, s66                                      // 000000007C1C: BF0A4252
	s_cselect_b32 s21, s36, s60                                // 000000007C20: 85153C24
	s_mov_b64 exec, s[20:21]                                   // 000000007C24: BEFE0114
	buffer_store_dword v85, v6, s[8:11], 0 offen               // 000000007C28: E0701000 80025506
	buffer_store_dword v87, v6, s[8:11], 0 offen offset:128    // 000000007C30: E0701080 80025706
	s_mov_b64 exec, s[36:37]                                   // 000000007C38: BEFE0124
	v_mov_b32_e32 v6, v64                                      // 000000007C3C: 7E0C0340
	s_mov_b64 s[60:61], 0                                      // 000000007C40: BEBC0180
	v_readlane_b32 s82, v3, 12                                 // 000000007C44: D2890052 00011903
	s_and_b32 s82, s82, 0xffffff                               // 000000007C4C: 8652FF52 00FFFFFF
	s_cmp_lt_u32 s82, s66                                      // 000000007C54: BF0A4252
	s_cselect_b32 s20, s36, s60                                // 000000007C58: 85143C24
	v_readlane_b32 s82, v3, 13                                 // 000000007C5C: D2890052 00011B03
	s_and_b32 s82, s82, 0xffffff                               // 000000007C64: 8652FF52 00FFFFFF
	s_cmp_lt_u32 s82, s66                                      // 000000007C6C: BF0A4252
	s_cselect_b32 s21, s36, s60                                // 000000007C70: 85153C24
	s_mov_b64 exec, s[20:21]                                   // 000000007C74: BEFE0114
	buffer_store_dword v88, v6, s[8:11], 0 offen               // 000000007C78: E0701000 80025806
	buffer_store_dword v90, v6, s[8:11], 0 offen offset:128    // 000000007C80: E0701080 80025A06
	s_mov_b64 exec, s[36:37]                                   // 000000007C88: BEFE0124
	v_mov_b32_e32 v6, v65                                      // 000000007C8C: 7E0C0341
	s_mov_b64 s[60:61], 0                                      // 000000007C90: BEBC0180
	v_readlane_b32 s82, v3, 14                                 // 000000007C94: D2890052 00011D03
	s_and_b32 s82, s82, 0xffffff                               // 000000007C9C: 8652FF52 00FFFFFF
	s_cmp_lt_u32 s82, s66                                      // 000000007CA4: BF0A4252
	s_cselect_b32 s20, s36, s60                                // 000000007CA8: 85143C24
	v_readlane_b32 s82, v3, 15                                 // 000000007CAC: D2890052 00011F03
	s_and_b32 s82, s82, 0xffffff                               // 000000007CB4: 8652FF52 00FFFFFF
	s_cmp_lt_u32 s82, s66                                      // 000000007CBC: BF0A4252
	s_cselect_b32 s21, s36, s60                                // 000000007CC0: 85153C24
	s_mov_b64 exec, s[20:21]                                   // 000000007CC4: BEFE0114
	buffer_store_dword v89, v6, s[8:11], 0 offen               // 000000007CC8: E0701000 80025906
	buffer_store_dword v91, v6, s[8:11], 0 offen offset:128    // 000000007CD0: E0701080 80025B06
	s_mov_b64 exec, s[36:37]                                   // 000000007CD8: BEFE0124
	v_mov_b32_e32 v6, v66                                      // 000000007CDC: 7E0C0342
	s_mov_b64 s[60:61], 0                                      // 000000007CE0: BEBC0180
	v_readlane_b32 s82, v3, 16                                 // 000000007CE4: D2890052 00012103
	s_and_b32 s82, s82, 0xffffff                               // 000000007CEC: 8652FF52 00FFFFFF
	s_cmp_lt_u32 s82, s66                                      // 000000007CF4: BF0A4252
	s_cselect_b32 s20, s36, s60                                // 000000007CF8: 85143C24
	v_readlane_b32 s82, v3, 17                                 // 000000007CFC: D2890052 00012303
	s_and_b32 s82, s82, 0xffffff                               // 000000007D04: 8652FF52 00FFFFFF
	s_cmp_lt_u32 s82, s66                                      // 000000007D0C: BF0A4252
	s_cselect_b32 s21, s36, s60                                // 000000007D10: 85153C24
	s_mov_b64 exec, s[20:21]                                   // 000000007D14: BEFE0114
	buffer_store_dword v92, v6, s[8:11], 0 offen               // 000000007D18: E0701000 80025C06
	buffer_store_dword v94, v6, s[8:11], 0 offen offset:128    // 000000007D20: E0701080 80025E06
	s_mov_b64 exec, s[36:37]                                   // 000000007D28: BEFE0124
	v_mov_b32_e32 v6, v67                                      // 000000007D2C: 7E0C0343
	s_mov_b64 s[60:61], 0                                      // 000000007D30: BEBC0180
	v_readlane_b32 s82, v3, 18                                 // 000000007D34: D2890052 00012503
	s_and_b32 s82, s82, 0xffffff                               // 000000007D3C: 8652FF52 00FFFFFF
	s_cmp_lt_u32 s82, s66                                      // 000000007D44: BF0A4252
	s_cselect_b32 s20, s36, s60                                // 000000007D48: 85143C24
	v_readlane_b32 s82, v3, 19                                 // 000000007D4C: D2890052 00012703
	s_and_b32 s82, s82, 0xffffff                               // 000000007D54: 8652FF52 00FFFFFF
	s_cmp_lt_u32 s82, s66                                      // 000000007D5C: BF0A4252
	s_cselect_b32 s21, s36, s60                                // 000000007D60: 85153C24
	s_mov_b64 exec, s[20:21]                                   // 000000007D64: BEFE0114
	buffer_store_dword v93, v6, s[8:11], 0 offen               // 000000007D68: E0701000 80025D06
	buffer_store_dword v95, v6, s[8:11], 0 offen offset:128    // 000000007D70: E0701080 80025F06
	s_mov_b64 exec, s[36:37]                                   // 000000007D78: BEFE0124
	v_mov_b32_e32 v6, v68                                      // 000000007D7C: 7E0C0344
	s_mov_b64 s[60:61], 0                                      // 000000007D80: BEBC0180
	v_readlane_b32 s82, v3, 20                                 // 000000007D84: D2890052 00012903
	s_and_b32 s82, s82, 0xffffff                               // 000000007D8C: 8652FF52 00FFFFFF
	s_cmp_lt_u32 s82, s66                                      // 000000007D94: BF0A4252
	s_cselect_b32 s20, s36, s60                                // 000000007D98: 85143C24
	v_readlane_b32 s82, v3, 21                                 // 000000007D9C: D2890052 00012B03
	s_and_b32 s82, s82, 0xffffff                               // 000000007DA4: 8652FF52 00FFFFFF
	s_cmp_lt_u32 s82, s66                                      // 000000007DAC: BF0A4252
	s_cselect_b32 s21, s36, s60                                // 000000007DB0: 85153C24
	s_mov_b64 exec, s[20:21]                                   // 000000007DB4: BEFE0114
	buffer_store_dword v96, v6, s[8:11], 0 offen               // 000000007DB8: E0701000 80026006
	buffer_store_dword v98, v6, s[8:11], 0 offen offset:128    // 000000007DC0: E0701080 80026206
	s_mov_b64 exec, s[36:37]                                   // 000000007DC8: BEFE0124
	v_mov_b32_e32 v6, v69                                      // 000000007DCC: 7E0C0345
	s_mov_b64 s[60:61], 0                                      // 000000007DD0: BEBC0180
	v_readlane_b32 s82, v3, 22                                 // 000000007DD4: D2890052 00012D03
	s_and_b32 s82, s82, 0xffffff                               // 000000007DDC: 8652FF52 00FFFFFF
	s_cmp_lt_u32 s82, s66                                      // 000000007DE4: BF0A4252
	s_cselect_b32 s20, s36, s60                                // 000000007DE8: 85143C24
	v_readlane_b32 s82, v3, 23                                 // 000000007DEC: D2890052 00012F03
	s_and_b32 s82, s82, 0xffffff                               // 000000007DF4: 8652FF52 00FFFFFF
	s_cmp_lt_u32 s82, s66                                      // 000000007DFC: BF0A4252
	s_cselect_b32 s21, s36, s60                                // 000000007E00: 85153C24
	s_mov_b64 exec, s[20:21]                                   // 000000007E04: BEFE0114
	buffer_store_dword v97, v6, s[8:11], 0 offen               // 000000007E08: E0701000 80026106
	buffer_store_dword v99, v6, s[8:11], 0 offen offset:128    // 000000007E10: E0701080 80026306
	s_mov_b64 exec, s[36:37]                                   // 000000007E18: BEFE0124
	v_mov_b32_e32 v6, v70                                      // 000000007E1C: 7E0C0346
	s_mov_b64 s[60:61], 0                                      // 000000007E20: BEBC0180
	v_readlane_b32 s82, v3, 24                                 // 000000007E24: D2890052 00013103
	s_and_b32 s82, s82, 0xffffff                               // 000000007E2C: 8652FF52 00FFFFFF
	s_cmp_lt_u32 s82, s66                                      // 000000007E34: BF0A4252
	s_cselect_b32 s20, s36, s60                                // 000000007E38: 85143C24
	v_readlane_b32 s82, v3, 25                                 // 000000007E3C: D2890052 00013303
	s_and_b32 s82, s82, 0xffffff                               // 000000007E44: 8652FF52 00FFFFFF
	s_cmp_lt_u32 s82, s66                                      // 000000007E4C: BF0A4252
	s_cselect_b32 s21, s36, s60                                // 000000007E50: 85153C24
	s_mov_b64 exec, s[20:21]                                   // 000000007E54: BEFE0114
	buffer_store_dword v100, v6, s[8:11], 0 offen              // 000000007E58: E0701000 80026406
	buffer_store_dword v102, v6, s[8:11], 0 offen offset:128   // 000000007E60: E0701080 80026606
	s_mov_b64 exec, s[36:37]                                   // 000000007E68: BEFE0124
	v_mov_b32_e32 v6, v71                                      // 000000007E6C: 7E0C0347
	s_mov_b64 s[60:61], 0                                      // 000000007E70: BEBC0180
	v_readlane_b32 s82, v3, 26                                 // 000000007E74: D2890052 00013503
	s_and_b32 s82, s82, 0xffffff                               // 000000007E7C: 8652FF52 00FFFFFF
	s_cmp_lt_u32 s82, s66                                      // 000000007E84: BF0A4252
	s_cselect_b32 s20, s36, s60                                // 000000007E88: 85143C24
	v_readlane_b32 s82, v3, 27                                 // 000000007E8C: D2890052 00013703
	s_and_b32 s82, s82, 0xffffff                               // 000000007E94: 8652FF52 00FFFFFF
	s_cmp_lt_u32 s82, s66                                      // 000000007E9C: BF0A4252
	s_cselect_b32 s21, s36, s60                                // 000000007EA0: 85153C24
	s_mov_b64 exec, s[20:21]                                   // 000000007EA4: BEFE0114
	buffer_store_dword v101, v6, s[8:11], 0 offen              // 000000007EA8: E0701000 80026506
	buffer_store_dword v103, v6, s[8:11], 0 offen offset:128   // 000000007EB0: E0701080 80026706
	s_mov_b64 exec, s[36:37]                                   // 000000007EB8: BEFE0124
	s_branch label_3512                                        // 000000007EBC: BF821FDF

0000000000007ec0 <label_1530>:
	ds_write_b64 v20, v[76:77]                                 // 000000007EC0: D89A0000 00004C14
	ds_write_b64 v20, v[80:81] offset:4352                     // 000000007EC8: D89A1100 00005014
	ds_write_b64 v20, v[84:85] offset:8704                     // 000000007ED0: D89A2200 00005414
	ds_write_b64 v20, v[88:89] offset:13056                    // 000000007ED8: D89A3300 00005814
	ds_write_b64 v20, v[92:93] offset:17408                    // 000000007EE0: D89A4400 00005C14
	ds_write_b64 v20, v[96:97] offset:21760                    // 000000007EE8: D89A5500 00006014
	ds_write_b64 v20, v[100:101] offset:26112                  // 000000007EF0: D89A6600 00006414
	ds_write_b64 v20, v[104:105] offset:2176                   // 000000007EF8: D89A0880 00006814
	ds_write_b64 v20, v[108:109] offset:6528                   // 000000007F00: D89A1980 00006C14
	ds_write_b64 v20, v[112:113] offset:10880                  // 000000007F08: D89A2A80 00007014
	ds_write_b64 v20, v[116:117] offset:15232                  // 000000007F10: D89A3B80 00007414
	ds_write_b64 v20, v[120:121] offset:19584                  // 000000007F18: D89A4C80 00007814
	ds_write_b64 v20, v[124:125] offset:23936                  // 000000007F20: D89A5D80 00007C14
	ds_write_b64 v20, v[128:129] offset:28288                  // 000000007F28: D89A6E80 00008014
	v_lshrrev_b32_e32 v4, 5, v0                                // 000000007F30: 20080085
	v_xor_b32_e32 v5, 1, v4                                    // 000000007F34: 2A0A0881
	s_mul_i32 s60, s65, 2                                      // 000000007F38: 923C8241
	s_cmp_eq_u32 s88, 0                                        // 000000007F3C: BF068058
	s_cselect_b32 s61, 1, 4                                    // 000000007F40: 853D8481
	s_mul_i32 s60, s61, s60                                    // 000000007F44: 923C3C3D
	v_readlane_b32 s82, v3, 0                                  // 000000007F48: D2890052 00010103
	s_lshr_b32 s61, s82, 24                                    // 000000007F50: 8F3D9852
	s_and_b32 s82, s82, 0xffffff                               // 000000007F54: 8652FF52 00FFFFFF
	s_mul_i32 s82, s82, s71                                    // 000000007F5C: 92524752
	s_mul_i32 s61, s60, s61                                    // 000000007F60: 923D3D3C
	s_add_u32 s82, s82, s61                                    // 000000007F64: 80523D52
	v_mul_lo_u32 v6, v5, s82                                   // 000000007F68: D2850006 0000A505
	v_readlane_b32 s82, v3, 1                                  // 000000007F70: D2890052 00010303
	s_lshr_b32 s61, s82, 24                                    // 000000007F78: 8F3D9852
	s_and_b32 s82, s82, 0xffffff                               // 000000007F7C: 8652FF52 00FFFFFF
	s_mul_i32 s82, s82, s71                                    // 000000007F84: 92524752
	s_mul_i32 s61, s60, s61                                    // 000000007F88: 923D3D3C
	s_add_u32 s82, s82, s61                                    // 000000007F8C: 80523D52
	v_mul_lo_u32 v7, v4, s82                                   // 000000007F90: D2850007 0000A504
	v_add_u32_e32 v58, v6, v7                                  // 000000007F98: 68740F06
	v_readlane_b32 s82, v3, 2                                  // 000000007F9C: D2890052 00010503
	s_lshr_b32 s61, s82, 24                                    // 000000007FA4: 8F3D9852
	s_and_b32 s82, s82, 0xffffff                               // 000000007FA8: 8652FF52 00FFFFFF
	s_mul_i32 s82, s82, s71                                    // 000000007FB0: 92524752
	s_mul_i32 s61, s60, s61                                    // 000000007FB4: 923D3D3C
	s_add_u32 s82, s82, s61                                    // 000000007FB8: 80523D52
	v_mul_lo_u32 v6, v5, s82                                   // 000000007FBC: D2850006 0000A505
	v_readlane_b32 s82, v3, 3                                  // 000000007FC4: D2890052 00010703
	s_lshr_b32 s61, s82, 24                                    // 000000007FCC: 8F3D9852
	s_and_b32 s82, s82, 0xffffff                               // 000000007FD0: 8652FF52 00FFFFFF
	s_mul_i32 s82, s82, s71                                    // 000000007FD8: 92524752
	s_mul_i32 s61, s60, s61                                    // 000000007FDC: 923D3D3C
	s_add_u32 s82, s82, s61                                    // 000000007FE0: 80523D52
	v_mul_lo_u32 v7, v4, s82                                   // 000000007FE4: D2850007 0000A504
	v_add_u32_e32 v59, v6, v7                                  // 000000007FEC: 68760F06
	v_readlane_b32 s82, v3, 4                                  // 000000007FF0: D2890052 00010903
	s_lshr_b32 s61, s82, 24                                    // 000000007FF8: 8F3D9852
	s_and_b32 s82, s82, 0xffffff                               // 000000007FFC: 8652FF52 00FFFFFF
	s_mul_i32 s82, s82, s71                                    // 000000008004: 92524752
	s_mul_i32 s61, s60, s61                                    // 000000008008: 923D3D3C
	s_add_u32 s82, s82, s61                                    // 00000000800C: 80523D52
	v_mul_lo_u32 v6, v5, s82                                   // 000000008010: D2850006 0000A505
	v_readlane_b32 s82, v3, 5                                  // 000000008018: D2890052 00010B03
	s_lshr_b32 s61, s82, 24                                    // 000000008020: 8F3D9852
	s_and_b32 s82, s82, 0xffffff                               // 000000008024: 8652FF52 00FFFFFF
	s_mul_i32 s82, s82, s71                                    // 00000000802C: 92524752
	s_mul_i32 s61, s60, s61                                    // 000000008030: 923D3D3C
	s_add_u32 s82, s82, s61                                    // 000000008034: 80523D52
	v_mul_lo_u32 v7, v4, s82                                   // 000000008038: D2850007 0000A504
	v_add_u32_e32 v60, v6, v7                                  // 000000008040: 68780F06
	v_readlane_b32 s82, v3, 6                                  // 000000008044: D2890052 00010D03
	s_lshr_b32 s61, s82, 24                                    // 00000000804C: 8F3D9852
	s_and_b32 s82, s82, 0xffffff                               // 000000008050: 8652FF52 00FFFFFF
	s_mul_i32 s82, s82, s71                                    // 000000008058: 92524752
	s_mul_i32 s61, s60, s61                                    // 00000000805C: 923D3D3C
	s_add_u32 s82, s82, s61                                    // 000000008060: 80523D52
	v_mul_lo_u32 v6, v5, s82                                   // 000000008064: D2850006 0000A505
	v_readlane_b32 s82, v3, 7                                  // 00000000806C: D2890052 00010F03
	s_lshr_b32 s61, s82, 24                                    // 000000008074: 8F3D9852
	s_and_b32 s82, s82, 0xffffff                               // 000000008078: 8652FF52 00FFFFFF
	s_mul_i32 s82, s82, s71                                    // 000000008080: 92524752
	s_mul_i32 s61, s60, s61                                    // 000000008084: 923D3D3C
	s_add_u32 s82, s82, s61                                    // 000000008088: 80523D52
	v_mul_lo_u32 v7, v4, s82                                   // 00000000808C: D2850007 0000A504
	v_add_u32_e32 v61, v6, v7                                  // 000000008094: 687A0F06
	v_readlane_b32 s82, v3, 8                                  // 000000008098: D2890052 00011103
	s_lshr_b32 s61, s82, 24                                    // 0000000080A0: 8F3D9852
	s_and_b32 s82, s82, 0xffffff                               // 0000000080A4: 8652FF52 00FFFFFF
	s_mul_i32 s82, s82, s71                                    // 0000000080AC: 92524752
	s_mul_i32 s61, s60, s61                                    // 0000000080B0: 923D3D3C
	s_add_u32 s82, s82, s61                                    // 0000000080B4: 80523D52
	v_mul_lo_u32 v6, v5, s82                                   // 0000000080B8: D2850006 0000A505
	v_readlane_b32 s82, v3, 9                                  // 0000000080C0: D2890052 00011303
	s_lshr_b32 s61, s82, 24                                    // 0000000080C8: 8F3D9852
	s_and_b32 s82, s82, 0xffffff                               // 0000000080CC: 8652FF52 00FFFFFF
	s_mul_i32 s82, s82, s71                                    // 0000000080D4: 92524752
	s_mul_i32 s61, s60, s61                                    // 0000000080D8: 923D3D3C
	s_add_u32 s82, s82, s61                                    // 0000000080DC: 80523D52
	v_mul_lo_u32 v7, v4, s82                                   // 0000000080E0: D2850007 0000A504
	v_add_u32_e32 v62, v6, v7                                  // 0000000080E8: 687C0F06
	v_readlane_b32 s82, v3, 10                                 // 0000000080EC: D2890052 00011503
	s_lshr_b32 s61, s82, 24                                    // 0000000080F4: 8F3D9852
	s_and_b32 s82, s82, 0xffffff                               // 0000000080F8: 8652FF52 00FFFFFF
	s_mul_i32 s82, s82, s71                                    // 000000008100: 92524752
	s_mul_i32 s61, s60, s61                                    // 000000008104: 923D3D3C
	s_add_u32 s82, s82, s61                                    // 000000008108: 80523D52
	v_mul_lo_u32 v6, v5, s82                                   // 00000000810C: D2850006 0000A505
	v_readlane_b32 s82, v3, 11                                 // 000000008114: D2890052 00011703
	s_lshr_b32 s61, s82, 24                                    // 00000000811C: 8F3D9852
	s_and_b32 s82, s82, 0xffffff                               // 000000008120: 8652FF52 00FFFFFF
	s_mul_i32 s82, s82, s71                                    // 000000008128: 92524752
	s_mul_i32 s61, s60, s61                                    // 00000000812C: 923D3D3C
	s_add_u32 s82, s82, s61                                    // 000000008130: 80523D52
	v_mul_lo_u32 v7, v4, s82                                   // 000000008134: D2850007 0000A504
	v_add_u32_e32 v63, v6, v7                                  // 00000000813C: 687E0F06
	v_readlane_b32 s82, v3, 12                                 // 000000008140: D2890052 00011903
	s_lshr_b32 s61, s82, 24                                    // 000000008148: 8F3D9852
	s_and_b32 s82, s82, 0xffffff                               // 00000000814C: 8652FF52 00FFFFFF
	s_mul_i32 s82, s82, s71                                    // 000000008154: 92524752
	s_mul_i32 s61, s60, s61                                    // 000000008158: 923D3D3C
	s_add_u32 s82, s82, s61                                    // 00000000815C: 80523D52
	v_mul_lo_u32 v6, v5, s82                                   // 000000008160: D2850006 0000A505
	v_readlane_b32 s82, v3, 13                                 // 000000008168: D2890052 00011B03
	s_lshr_b32 s61, s82, 24                                    // 000000008170: 8F3D9852
	s_and_b32 s82, s82, 0xffffff                               // 000000008174: 8652FF52 00FFFFFF
	s_mul_i32 s82, s82, s71                                    // 00000000817C: 92524752
	s_mul_i32 s61, s60, s61                                    // 000000008180: 923D3D3C
	s_add_u32 s82, s82, s61                                    // 000000008184: 80523D52
	v_mul_lo_u32 v7, v4, s82                                   // 000000008188: D2850007 0000A504
	v_add_u32_e32 v64, v6, v7                                  // 000000008190: 68800F06
	v_readlane_b32 s82, v3, 14                                 // 000000008194: D2890052 00011D03
	s_lshr_b32 s61, s82, 24                                    // 00000000819C: 8F3D9852
	s_and_b32 s82, s82, 0xffffff                               // 0000000081A0: 8652FF52 00FFFFFF
	s_mul_i32 s82, s82, s71                                    // 0000000081A8: 92524752
	s_mul_i32 s61, s60, s61                                    // 0000000081AC: 923D3D3C
	s_add_u32 s82, s82, s61                                    // 0000000081B0: 80523D52
	v_mul_lo_u32 v6, v5, s82                                   // 0000000081B4: D2850006 0000A505
	v_readlane_b32 s82, v3, 15                                 // 0000000081BC: D2890052 00011F03
	s_lshr_b32 s61, s82, 24                                    // 0000000081C4: 8F3D9852
	s_and_b32 s82, s82, 0xffffff                               // 0000000081C8: 8652FF52 00FFFFFF
	s_mul_i32 s82, s82, s71                                    // 0000000081D0: 92524752
	s_mul_i32 s61, s60, s61                                    // 0000000081D4: 923D3D3C
	s_add_u32 s82, s82, s61                                    // 0000000081D8: 80523D52
	v_mul_lo_u32 v7, v4, s82                                   // 0000000081DC: D2850007 0000A504
	v_add_u32_e32 v65, v6, v7                                  // 0000000081E4: 68820F06
	v_readlane_b32 s82, v3, 16                                 // 0000000081E8: D2890052 00012103
	s_lshr_b32 s61, s82, 24                                    // 0000000081F0: 8F3D9852
	s_and_b32 s82, s82, 0xffffff                               // 0000000081F4: 8652FF52 00FFFFFF
	s_mul_i32 s82, s82, s71                                    // 0000000081FC: 92524752
	s_mul_i32 s61, s60, s61                                    // 000000008200: 923D3D3C
	s_add_u32 s82, s82, s61                                    // 000000008204: 80523D52
	v_mul_lo_u32 v6, v5, s82                                   // 000000008208: D2850006 0000A505
	v_readlane_b32 s82, v3, 17                                 // 000000008210: D2890052 00012303
	s_lshr_b32 s61, s82, 24                                    // 000000008218: 8F3D9852
	s_and_b32 s82, s82, 0xffffff                               // 00000000821C: 8652FF52 00FFFFFF
	s_mul_i32 s82, s82, s71                                    // 000000008224: 92524752
	s_mul_i32 s61, s60, s61                                    // 000000008228: 923D3D3C
	s_add_u32 s82, s82, s61                                    // 00000000822C: 80523D52
	v_mul_lo_u32 v7, v4, s82                                   // 000000008230: D2850007 0000A504
	v_add_u32_e32 v66, v6, v7                                  // 000000008238: 68840F06
	v_readlane_b32 s82, v3, 18                                 // 00000000823C: D2890052 00012503
	s_lshr_b32 s61, s82, 24                                    // 000000008244: 8F3D9852
	s_and_b32 s82, s82, 0xffffff                               // 000000008248: 8652FF52 00FFFFFF
	s_mul_i32 s82, s82, s71                                    // 000000008250: 92524752
	s_mul_i32 s61, s60, s61                                    // 000000008254: 923D3D3C
	s_add_u32 s82, s82, s61                                    // 000000008258: 80523D52
	v_mul_lo_u32 v6, v5, s82                                   // 00000000825C: D2850006 0000A505
	v_readlane_b32 s82, v3, 19                                 // 000000008264: D2890052 00012703
	s_lshr_b32 s61, s82, 24                                    // 00000000826C: 8F3D9852
	s_and_b32 s82, s82, 0xffffff                               // 000000008270: 8652FF52 00FFFFFF
	s_mul_i32 s82, s82, s71                                    // 000000008278: 92524752
	s_mul_i32 s61, s60, s61                                    // 00000000827C: 923D3D3C
	s_add_u32 s82, s82, s61                                    // 000000008280: 80523D52
	v_mul_lo_u32 v7, v4, s82                                   // 000000008284: D2850007 0000A504
	v_add_u32_e32 v67, v6, v7                                  // 00000000828C: 68860F06
	v_readlane_b32 s82, v3, 20                                 // 000000008290: D2890052 00012903
	s_lshr_b32 s61, s82, 24                                    // 000000008298: 8F3D9852
	s_and_b32 s82, s82, 0xffffff                               // 00000000829C: 8652FF52 00FFFFFF
	s_mul_i32 s82, s82, s71                                    // 0000000082A4: 92524752
	s_mul_i32 s61, s60, s61                                    // 0000000082A8: 923D3D3C
	s_add_u32 s82, s82, s61                                    // 0000000082AC: 80523D52
	v_mul_lo_u32 v6, v5, s82                                   // 0000000082B0: D2850006 0000A505
	v_readlane_b32 s82, v3, 21                                 // 0000000082B8: D2890052 00012B03
	s_lshr_b32 s61, s82, 24                                    // 0000000082C0: 8F3D9852
	s_and_b32 s82, s82, 0xffffff                               // 0000000082C4: 8652FF52 00FFFFFF
	s_mul_i32 s82, s82, s71                                    // 0000000082CC: 92524752
	s_mul_i32 s61, s60, s61                                    // 0000000082D0: 923D3D3C
	s_add_u32 s82, s82, s61                                    // 0000000082D4: 80523D52
	v_mul_lo_u32 v7, v4, s82                                   // 0000000082D8: D2850007 0000A504
	v_add_u32_e32 v68, v6, v7                                  // 0000000082E0: 68880F06
	v_readlane_b32 s82, v3, 22                                 // 0000000082E4: D2890052 00012D03
	s_lshr_b32 s61, s82, 24                                    // 0000000082EC: 8F3D9852
	s_and_b32 s82, s82, 0xffffff                               // 0000000082F0: 8652FF52 00FFFFFF
	s_mul_i32 s82, s82, s71                                    // 0000000082F8: 92524752
	s_mul_i32 s61, s60, s61                                    // 0000000082FC: 923D3D3C
	s_add_u32 s82, s82, s61                                    // 000000008300: 80523D52
	v_mul_lo_u32 v6, v5, s82                                   // 000000008304: D2850006 0000A505
	v_readlane_b32 s82, v3, 23                                 // 00000000830C: D2890052 00012F03
	s_lshr_b32 s61, s82, 24                                    // 000000008314: 8F3D9852
	s_and_b32 s82, s82, 0xffffff                               // 000000008318: 8652FF52 00FFFFFF
	s_mul_i32 s82, s82, s71                                    // 000000008320: 92524752
	s_mul_i32 s61, s60, s61                                    // 000000008324: 923D3D3C
	s_add_u32 s82, s82, s61                                    // 000000008328: 80523D52
	v_mul_lo_u32 v7, v4, s82                                   // 00000000832C: D2850007 0000A504
	v_add_u32_e32 v69, v6, v7                                  // 000000008334: 688A0F06
	v_readlane_b32 s82, v3, 24                                 // 000000008338: D2890052 00013103
	s_lshr_b32 s61, s82, 24                                    // 000000008340: 8F3D9852
	s_and_b32 s82, s82, 0xffffff                               // 000000008344: 8652FF52 00FFFFFF
	s_mul_i32 s82, s82, s71                                    // 00000000834C: 92524752
	s_mul_i32 s61, s60, s61                                    // 000000008350: 923D3D3C
	s_add_u32 s82, s82, s61                                    // 000000008354: 80523D52
	v_mul_lo_u32 v6, v5, s82                                   // 000000008358: D2850006 0000A505
	v_readlane_b32 s82, v3, 25                                 // 000000008360: D2890052 00013303
	s_lshr_b32 s61, s82, 24                                    // 000000008368: 8F3D9852
	s_and_b32 s82, s82, 0xffffff                               // 00000000836C: 8652FF52 00FFFFFF
	s_mul_i32 s82, s82, s71                                    // 000000008374: 92524752
	s_mul_i32 s61, s60, s61                                    // 000000008378: 923D3D3C
	s_add_u32 s82, s82, s61                                    // 00000000837C: 80523D52
	v_mul_lo_u32 v7, v4, s82                                   // 000000008380: D2850007 0000A504
	v_add_u32_e32 v70, v6, v7                                  // 000000008388: 688C0F06
	v_readlane_b32 s82, v3, 26                                 // 00000000838C: D2890052 00013503
	s_lshr_b32 s61, s82, 24                                    // 000000008394: 8F3D9852
	s_and_b32 s82, s82, 0xffffff                               // 000000008398: 8652FF52 00FFFFFF
	s_mul_i32 s82, s82, s71                                    // 0000000083A0: 92524752
	s_mul_i32 s61, s60, s61                                    // 0000000083A4: 923D3D3C
	s_add_u32 s82, s82, s61                                    // 0000000083A8: 80523D52
	v_mul_lo_u32 v6, v5, s82                                   // 0000000083AC: D2850006 0000A505
	v_readlane_b32 s82, v3, 27                                 // 0000000083B4: D2890052 00013703
	s_lshr_b32 s61, s82, 24                                    // 0000000083BC: 8F3D9852
	s_and_b32 s82, s82, 0xffffff                               // 0000000083C0: 8652FF52 00FFFFFF
	s_mul_i32 s82, s82, s71                                    // 0000000083C8: 92524752
	s_mul_i32 s61, s60, s61                                    // 0000000083CC: 923D3D3C
	s_add_u32 s82, s82, s61                                    // 0000000083D0: 80523D52
	v_mul_lo_u32 v7, v4, s82                                   // 0000000083D4: D2850007 0000A504
	v_add_u32_e32 v71, v6, v7                                  // 0000000083DC: 688E0F06
	v_and_b32_e32 v4, 31, v0                                   // 0000000083E0: 2608009F
	v_lshrrev_b32_e32 v4, 1, v4                                // 0000000083E4: 20080881
	s_cmp_eq_u32 s88, 0                                        // 0000000083E8: BF068058
	s_cselect_b32 s61, 2, 4                                    // 0000000083EC: 853D8482
	v_mul_lo_u32 v4, v4, s61                                   // 0000000083F0: D2850004 00007B04
	v_and_b32_e64 v5, v0, 1                                    // 0000000083F8: D1130005 00010300
	v_add_u32_e32 v4, v4, v5                                   // 000000008400: 68080B04
	v_lshlrev_b32_e32 v4, 2, v4                                // 000000008404: 24080882
	v_add_u32_e32 v58, v58, v4                                 // 000000008408: 6874093A
	v_add_u32_e32 v59, v59, v4                                 // 00000000840C: 6876093B
	v_add_u32_e32 v60, v60, v4                                 // 000000008410: 6878093C
	v_add_u32_e32 v61, v61, v4                                 // 000000008414: 687A093D
	v_add_u32_e32 v62, v62, v4                                 // 000000008418: 687C093E
	v_add_u32_e32 v63, v63, v4                                 // 00000000841C: 687E093F
	v_add_u32_e32 v64, v64, v4                                 // 000000008420: 68800940
	v_add_u32_e32 v65, v65, v4                                 // 000000008424: 68820941
	;; [unrolled: 1-line block ×3, first 2 shown]
	v_add_u32_e32 v67, v67, v4                                 // 00000000842C: 68860943
	v_add_u32_e32 v68, v68, v4                                 // 000000008430: 68880944
	v_add_u32_e32 v69, v69, v4                                 // 000000008434: 688A0945
	v_add_u32_e32 v70, v70, v4                                 // 000000008438: 688C0946
	v_add_u32_e32 v71, v71, v4                                 // 00000000843C: 688E0947
	s_waitcnt lgkmcnt(0)                                       // 000000008440: BF8CC07F
	s_barrier                                                  // 000000008444: BF8A0000
	ds_read_b32 v76, v21                                       // 000000008448: D86C0000 4C000015
	ds_read_b32 v77, v21 offset:64                             // 000000008450: D86C0040 4D000015
	ds_read_b32 v80, v21 offset:2176                           // 000000008458: D86C0880 50000015
	ds_read_b32 v81, v21 offset:2240                           // 000000008460: D86C08C0 51000015
	ds_read_b32 v84, v21 offset:4352                           // 000000008468: D86C1100 54000015
	ds_read_b32 v85, v21 offset:4416                           // 000000008470: D86C1140 55000015
	ds_read_b32 v88, v21 offset:6528                           // 000000008478: D86C1980 58000015
	ds_read_b32 v89, v21 offset:6592                           // 000000008480: D86C19C0 59000015
	ds_read_b32 v92, v21 offset:8704                           // 000000008488: D86C2200 5C000015
	ds_read_b32 v93, v21 offset:8768                           // 000000008490: D86C2240 5D000015
	ds_read_b32 v96, v21 offset:10880                          // 000000008498: D86C2A80 60000015
	ds_read_b32 v97, v21 offset:10944                          // 0000000084A0: D86C2AC0 61000015
	ds_read_b32 v100, v21 offset:13056                         // 0000000084A8: D86C3300 64000015
	ds_read_b32 v101, v21 offset:13120                         // 0000000084B0: D86C3340 65000015
	ds_read_b32 v104, v21 offset:15232                         // 0000000084B8: D86C3B80 68000015
	ds_read_b32 v105, v21 offset:15296                         // 0000000084C0: D86C3BC0 69000015
	ds_read_b32 v108, v21 offset:17408                         // 0000000084C8: D86C4400 6C000015
	ds_read_b32 v109, v21 offset:17472                         // 0000000084D0: D86C4440 6D000015
	ds_read_b32 v112, v21 offset:19584                         // 0000000084D8: D86C4C80 70000015
	ds_read_b32 v113, v21 offset:19648                         // 0000000084E0: D86C4CC0 71000015
	ds_read_b32 v116, v21 offset:21760                         // 0000000084E8: D86C5500 74000015
	ds_read_b32 v117, v21 offset:21824                         // 0000000084F0: D86C5540 75000015
	ds_read_b32 v120, v21 offset:23936                         // 0000000084F8: D86C5D80 78000015
	ds_read_b32 v121, v21 offset:24000                         // 000000008500: D86C5DC0 79000015
	ds_read_b32 v124, v21 offset:26112                         // 000000008508: D86C6600 7C000015
	ds_read_b32 v125, v21 offset:26176                         // 000000008510: D86C6640 7D000015
	ds_read_b32 v128, v21 offset:28288                         // 000000008518: D86C6E80 80000015
	ds_read_b32 v129, v21 offset:28352                         // 000000008520: D86C6EC0 81000015
	s_waitcnt lgkmcnt(0)                                       // 000000008528: BF8CC07F
	s_mov_b32 s36, -1                                          // 00000000852C: BEA400C1
	s_mov_b32 s37, -1                                          // 000000008530: BEA500C1
	v_mov_b32_e32 v7, 0                                        // 000000008534: 7E0E0280
	s_mov_b64 exec, s[36:37]                                   // 000000008538: BEFE0124
	v_mov_b32_e32 v6, v58                                      // 00000000853C: 7E0C033A
	s_mov_b64 s[60:61], 0                                      // 000000008540: BEBC0180
	v_readlane_b32 s82, v3, 0                                  // 000000008544: D2890052 00010103
	s_and_b32 s82, s82, 0xffffff                               // 00000000854C: 8652FF52 00FFFFFF
	s_cmp_lt_u32 s82, s66                                      // 000000008554: BF0A4252
	s_cselect_b32 s20, s36, s60                                // 000000008558: 85143C24
	v_readlane_b32 s82, v3, 1                                  // 00000000855C: D2890052 00010303
	s_and_b32 s82, s82, 0xffffff                               // 000000008564: 8652FF52 00FFFFFF
	s_cmp_lt_u32 s82, s66                                      // 00000000856C: BF0A4252
	s_cselect_b32 s21, s36, s60                                // 000000008570: 85153C24
	s_mov_b64 exec, s[20:21]                                   // 000000008574: BEFE0114
	global_atomic_add_f32 v6, v76, s[8:9]                      // 000000008578: DD348000 00084C06
	global_atomic_add_f32 v6, v80, s[8:9] offset:256           // 000000008580: DD348100 00085006
	s_mov_b64 exec, s[36:37]                                   // 000000008588: BEFE0124
	v_mov_b32_e32 v6, v59                                      // 00000000858C: 7E0C033B
	s_mov_b64 s[60:61], 0                                      // 000000008590: BEBC0180
	v_readlane_b32 s82, v3, 2                                  // 000000008594: D2890052 00010503
	s_and_b32 s82, s82, 0xffffff                               // 00000000859C: 8652FF52 00FFFFFF
	s_cmp_lt_u32 s82, s66                                      // 0000000085A4: BF0A4252
	s_cselect_b32 s20, s36, s60                                // 0000000085A8: 85143C24
	v_readlane_b32 s82, v3, 3                                  // 0000000085AC: D2890052 00010703
	s_and_b32 s82, s82, 0xffffff                               // 0000000085B4: 8652FF52 00FFFFFF
	s_cmp_lt_u32 s82, s66                                      // 0000000085BC: BF0A4252
	s_cselect_b32 s21, s36, s60                                // 0000000085C0: 85153C24
	s_mov_b64 exec, s[20:21]                                   // 0000000085C4: BEFE0114
	global_atomic_add_f32 v6, v77, s[8:9]                      // 0000000085C8: DD348000 00084D06
	global_atomic_add_f32 v6, v81, s[8:9] offset:256           // 0000000085D0: DD348100 00085106
	s_mov_b64 exec, s[36:37]                                   // 0000000085D8: BEFE0124
	v_mov_b32_e32 v6, v60                                      // 0000000085DC: 7E0C033C
	s_mov_b64 s[60:61], 0                                      // 0000000085E0: BEBC0180
	v_readlane_b32 s82, v3, 4                                  // 0000000085E4: D2890052 00010903
	s_and_b32 s82, s82, 0xffffff                               // 0000000085EC: 8652FF52 00FFFFFF
	s_cmp_lt_u32 s82, s66                                      // 0000000085F4: BF0A4252
	s_cselect_b32 s20, s36, s60                                // 0000000085F8: 85143C24
	v_readlane_b32 s82, v3, 5                                  // 0000000085FC: D2890052 00010B03
	s_and_b32 s82, s82, 0xffffff                               // 000000008604: 8652FF52 00FFFFFF
	s_cmp_lt_u32 s82, s66                                      // 00000000860C: BF0A4252
	s_cselect_b32 s21, s36, s60                                // 000000008610: 85153C24
	s_mov_b64 exec, s[20:21]                                   // 000000008614: BEFE0114
	global_atomic_add_f32 v6, v84, s[8:9]                      // 000000008618: DD348000 00085406
	global_atomic_add_f32 v6, v88, s[8:9] offset:256           // 000000008620: DD348100 00085806
	s_mov_b64 exec, s[36:37]                                   // 000000008628: BEFE0124
	v_mov_b32_e32 v6, v61                                      // 00000000862C: 7E0C033D
	s_mov_b64 s[60:61], 0                                      // 000000008630: BEBC0180
	v_readlane_b32 s82, v3, 6                                  // 000000008634: D2890052 00010D03
	s_and_b32 s82, s82, 0xffffff                               // 00000000863C: 8652FF52 00FFFFFF
	s_cmp_lt_u32 s82, s66                                      // 000000008644: BF0A4252
	s_cselect_b32 s20, s36, s60                                // 000000008648: 85143C24
	v_readlane_b32 s82, v3, 7                                  // 00000000864C: D2890052 00010F03
	s_and_b32 s82, s82, 0xffffff                               // 000000008654: 8652FF52 00FFFFFF
	s_cmp_lt_u32 s82, s66                                      // 00000000865C: BF0A4252
	s_cselect_b32 s21, s36, s60                                // 000000008660: 85153C24
	s_mov_b64 exec, s[20:21]                                   // 000000008664: BEFE0114
	global_atomic_add_f32 v6, v85, s[8:9]                      // 000000008668: DD348000 00085506
	global_atomic_add_f32 v6, v89, s[8:9] offset:256           // 000000008670: DD348100 00085906
	s_mov_b64 exec, s[36:37]                                   // 000000008678: BEFE0124
	v_mov_b32_e32 v6, v62                                      // 00000000867C: 7E0C033E
	s_mov_b64 s[60:61], 0                                      // 000000008680: BEBC0180
	v_readlane_b32 s82, v3, 8                                  // 000000008684: D2890052 00011103
	s_and_b32 s82, s82, 0xffffff                               // 00000000868C: 8652FF52 00FFFFFF
	s_cmp_lt_u32 s82, s66                                      // 000000008694: BF0A4252
	s_cselect_b32 s20, s36, s60                                // 000000008698: 85143C24
	v_readlane_b32 s82, v3, 9                                  // 00000000869C: D2890052 00011303
	s_and_b32 s82, s82, 0xffffff                               // 0000000086A4: 8652FF52 00FFFFFF
	s_cmp_lt_u32 s82, s66                                      // 0000000086AC: BF0A4252
	s_cselect_b32 s21, s36, s60                                // 0000000086B0: 85153C24
	s_mov_b64 exec, s[20:21]                                   // 0000000086B4: BEFE0114
	global_atomic_add_f32 v6, v92, s[8:9]                      // 0000000086B8: DD348000 00085C06
	global_atomic_add_f32 v6, v96, s[8:9] offset:256           // 0000000086C0: DD348100 00086006
	s_mov_b64 exec, s[36:37]                                   // 0000000086C8: BEFE0124
	v_mov_b32_e32 v6, v63                                      // 0000000086CC: 7E0C033F
	s_mov_b64 s[60:61], 0                                      // 0000000086D0: BEBC0180
	v_readlane_b32 s82, v3, 10                                 // 0000000086D4: D2890052 00011503
	s_and_b32 s82, s82, 0xffffff                               // 0000000086DC: 8652FF52 00FFFFFF
	s_cmp_lt_u32 s82, s66                                      // 0000000086E4: BF0A4252
	s_cselect_b32 s20, s36, s60                                // 0000000086E8: 85143C24
	v_readlane_b32 s82, v3, 11                                 // 0000000086EC: D2890052 00011703
	s_and_b32 s82, s82, 0xffffff                               // 0000000086F4: 8652FF52 00FFFFFF
	s_cmp_lt_u32 s82, s66                                      // 0000000086FC: BF0A4252
	s_cselect_b32 s21, s36, s60                                // 000000008700: 85153C24
	s_mov_b64 exec, s[20:21]                                   // 000000008704: BEFE0114
	global_atomic_add_f32 v6, v93, s[8:9]                      // 000000008708: DD348000 00085D06
	global_atomic_add_f32 v6, v97, s[8:9] offset:256           // 000000008710: DD348100 00086106
	s_mov_b64 exec, s[36:37]                                   // 000000008718: BEFE0124
	v_mov_b32_e32 v6, v64                                      // 00000000871C: 7E0C0340
	s_mov_b64 s[60:61], 0                                      // 000000008720: BEBC0180
	v_readlane_b32 s82, v3, 12                                 // 000000008724: D2890052 00011903
	s_and_b32 s82, s82, 0xffffff                               // 00000000872C: 8652FF52 00FFFFFF
	s_cmp_lt_u32 s82, s66                                      // 000000008734: BF0A4252
	s_cselect_b32 s20, s36, s60                                // 000000008738: 85143C24
	v_readlane_b32 s82, v3, 13                                 // 00000000873C: D2890052 00011B03
	s_and_b32 s82, s82, 0xffffff                               // 000000008744: 8652FF52 00FFFFFF
	s_cmp_lt_u32 s82, s66                                      // 00000000874C: BF0A4252
	s_cselect_b32 s21, s36, s60                                // 000000008750: 85153C24
	s_mov_b64 exec, s[20:21]                                   // 000000008754: BEFE0114
	global_atomic_add_f32 v6, v100, s[8:9]                     // 000000008758: DD348000 00086406
	global_atomic_add_f32 v6, v104, s[8:9] offset:256          // 000000008760: DD348100 00086806
	s_mov_b64 exec, s[36:37]                                   // 000000008768: BEFE0124
	v_mov_b32_e32 v6, v65                                      // 00000000876C: 7E0C0341
	s_mov_b64 s[60:61], 0                                      // 000000008770: BEBC0180
	v_readlane_b32 s82, v3, 14                                 // 000000008774: D2890052 00011D03
	s_and_b32 s82, s82, 0xffffff                               // 00000000877C: 8652FF52 00FFFFFF
	s_cmp_lt_u32 s82, s66                                      // 000000008784: BF0A4252
	s_cselect_b32 s20, s36, s60                                // 000000008788: 85143C24
	v_readlane_b32 s82, v3, 15                                 // 00000000878C: D2890052 00011F03
	s_and_b32 s82, s82, 0xffffff                               // 000000008794: 8652FF52 00FFFFFF
	s_cmp_lt_u32 s82, s66                                      // 00000000879C: BF0A4252
	s_cselect_b32 s21, s36, s60                                // 0000000087A0: 85153C24
	s_mov_b64 exec, s[20:21]                                   // 0000000087A4: BEFE0114
	global_atomic_add_f32 v6, v101, s[8:9]                     // 0000000087A8: DD348000 00086506
	global_atomic_add_f32 v6, v105, s[8:9] offset:256          // 0000000087B0: DD348100 00086906
	s_mov_b64 exec, s[36:37]                                   // 0000000087B8: BEFE0124
	v_mov_b32_e32 v6, v66                                      // 0000000087BC: 7E0C0342
	s_mov_b64 s[60:61], 0                                      // 0000000087C0: BEBC0180
	v_readlane_b32 s82, v3, 16                                 // 0000000087C4: D2890052 00012103
	s_and_b32 s82, s82, 0xffffff                               // 0000000087CC: 8652FF52 00FFFFFF
	s_cmp_lt_u32 s82, s66                                      // 0000000087D4: BF0A4252
	s_cselect_b32 s20, s36, s60                                // 0000000087D8: 85143C24
	v_readlane_b32 s82, v3, 17                                 // 0000000087DC: D2890052 00012303
	s_and_b32 s82, s82, 0xffffff                               // 0000000087E4: 8652FF52 00FFFFFF
	s_cmp_lt_u32 s82, s66                                      // 0000000087EC: BF0A4252
	s_cselect_b32 s21, s36, s60                                // 0000000087F0: 85153C24
	s_mov_b64 exec, s[20:21]                                   // 0000000087F4: BEFE0114
	global_atomic_add_f32 v6, v108, s[8:9]                     // 0000000087F8: DD348000 00086C06
	global_atomic_add_f32 v6, v112, s[8:9] offset:256          // 000000008800: DD348100 00087006
	s_mov_b64 exec, s[36:37]                                   // 000000008808: BEFE0124
	v_mov_b32_e32 v6, v67                                      // 00000000880C: 7E0C0343
	s_mov_b64 s[60:61], 0                                      // 000000008810: BEBC0180
	v_readlane_b32 s82, v3, 18                                 // 000000008814: D2890052 00012503
	s_and_b32 s82, s82, 0xffffff                               // 00000000881C: 8652FF52 00FFFFFF
	s_cmp_lt_u32 s82, s66                                      // 000000008824: BF0A4252
	s_cselect_b32 s20, s36, s60                                // 000000008828: 85143C24
	v_readlane_b32 s82, v3, 19                                 // 00000000882C: D2890052 00012703
	s_and_b32 s82, s82, 0xffffff                               // 000000008834: 8652FF52 00FFFFFF
	s_cmp_lt_u32 s82, s66                                      // 00000000883C: BF0A4252
	s_cselect_b32 s21, s36, s60                                // 000000008840: 85153C24
	s_mov_b64 exec, s[20:21]                                   // 000000008844: BEFE0114
	global_atomic_add_f32 v6, v109, s[8:9]                     // 000000008848: DD348000 00086D06
	global_atomic_add_f32 v6, v113, s[8:9] offset:256          // 000000008850: DD348100 00087106
	s_mov_b64 exec, s[36:37]                                   // 000000008858: BEFE0124
	v_mov_b32_e32 v6, v68                                      // 00000000885C: 7E0C0344
	s_mov_b64 s[60:61], 0                                      // 000000008860: BEBC0180
	v_readlane_b32 s82, v3, 20                                 // 000000008864: D2890052 00012903
	s_and_b32 s82, s82, 0xffffff                               // 00000000886C: 8652FF52 00FFFFFF
	s_cmp_lt_u32 s82, s66                                      // 000000008874: BF0A4252
	s_cselect_b32 s20, s36, s60                                // 000000008878: 85143C24
	v_readlane_b32 s82, v3, 21                                 // 00000000887C: D2890052 00012B03
	s_and_b32 s82, s82, 0xffffff                               // 000000008884: 8652FF52 00FFFFFF
	s_cmp_lt_u32 s82, s66                                      // 00000000888C: BF0A4252
	s_cselect_b32 s21, s36, s60                                // 000000008890: 85153C24
	s_mov_b64 exec, s[20:21]                                   // 000000008894: BEFE0114
	global_atomic_add_f32 v6, v116, s[8:9]                     // 000000008898: DD348000 00087406
	global_atomic_add_f32 v6, v120, s[8:9] offset:256          // 0000000088A0: DD348100 00087806
	s_mov_b64 exec, s[36:37]                                   // 0000000088A8: BEFE0124
	v_mov_b32_e32 v6, v69                                      // 0000000088AC: 7E0C0345
	s_mov_b64 s[60:61], 0                                      // 0000000088B0: BEBC0180
	v_readlane_b32 s82, v3, 22                                 // 0000000088B4: D2890052 00012D03
	s_and_b32 s82, s82, 0xffffff                               // 0000000088BC: 8652FF52 00FFFFFF
	s_cmp_lt_u32 s82, s66                                      // 0000000088C4: BF0A4252
	s_cselect_b32 s20, s36, s60                                // 0000000088C8: 85143C24
	v_readlane_b32 s82, v3, 23                                 // 0000000088CC: D2890052 00012F03
	s_and_b32 s82, s82, 0xffffff                               // 0000000088D4: 8652FF52 00FFFFFF
	s_cmp_lt_u32 s82, s66                                      // 0000000088DC: BF0A4252
	s_cselect_b32 s21, s36, s60                                // 0000000088E0: 85153C24
	s_mov_b64 exec, s[20:21]                                   // 0000000088E4: BEFE0114
	global_atomic_add_f32 v6, v117, s[8:9]                     // 0000000088E8: DD348000 00087506
	global_atomic_add_f32 v6, v121, s[8:9] offset:256          // 0000000088F0: DD348100 00087906
	s_mov_b64 exec, s[36:37]                                   // 0000000088F8: BEFE0124
	v_mov_b32_e32 v6, v70                                      // 0000000088FC: 7E0C0346
	s_mov_b64 s[60:61], 0                                      // 000000008900: BEBC0180
	v_readlane_b32 s82, v3, 24                                 // 000000008904: D2890052 00013103
	s_and_b32 s82, s82, 0xffffff                               // 00000000890C: 8652FF52 00FFFFFF
	s_cmp_lt_u32 s82, s66                                      // 000000008914: BF0A4252
	s_cselect_b32 s20, s36, s60                                // 000000008918: 85143C24
	v_readlane_b32 s82, v3, 25                                 // 00000000891C: D2890052 00013303
	s_and_b32 s82, s82, 0xffffff                               // 000000008924: 8652FF52 00FFFFFF
	s_cmp_lt_u32 s82, s66                                      // 00000000892C: BF0A4252
	s_cselect_b32 s21, s36, s60                                // 000000008930: 85153C24
	s_mov_b64 exec, s[20:21]                                   // 000000008934: BEFE0114
	global_atomic_add_f32 v6, v124, s[8:9]                     // 000000008938: DD348000 00087C06
	global_atomic_add_f32 v6, v128, s[8:9] offset:256          // 000000008940: DD348100 00088006
	s_mov_b64 exec, s[36:37]                                   // 000000008948: BEFE0124
	v_mov_b32_e32 v6, v71                                      // 00000000894C: 7E0C0347
	s_mov_b64 s[60:61], 0                                      // 000000008950: BEBC0180
	v_readlane_b32 s82, v3, 26                                 // 000000008954: D2890052 00013503
	s_and_b32 s82, s82, 0xffffff                               // 00000000895C: 8652FF52 00FFFFFF
	s_cmp_lt_u32 s82, s66                                      // 000000008964: BF0A4252
	s_cselect_b32 s20, s36, s60                                // 000000008968: 85143C24
	v_readlane_b32 s82, v3, 27                                 // 00000000896C: D2890052 00013703
	s_and_b32 s82, s82, 0xffffff                               // 000000008974: 8652FF52 00FFFFFF
	s_cmp_lt_u32 s82, s66                                      // 00000000897C: BF0A4252
	s_cselect_b32 s21, s36, s60                                // 000000008980: 85153C24
	s_mov_b64 exec, s[20:21]                                   // 000000008984: BEFE0114
	global_atomic_add_f32 v6, v125, s[8:9]                     // 000000008988: DD348000 00087D06
	global_atomic_add_f32 v6, v129, s[8:9] offset:256          // 000000008990: DD348100 00088106
	s_mov_b64 exec, s[36:37]                                   // 000000008998: BEFE0124
	ds_write_b64 v20, v[78:79]                                 // 00000000899C: D89A0000 00004E14
	ds_write_b64 v20, v[82:83] offset:4352                     // 0000000089A4: D89A1100 00005214
	ds_write_b64 v20, v[86:87] offset:8704                     // 0000000089AC: D89A2200 00005614
	ds_write_b64 v20, v[90:91] offset:13056                    // 0000000089B4: D89A3300 00005A14
	ds_write_b64 v20, v[94:95] offset:17408                    // 0000000089BC: D89A4400 00005E14
	ds_write_b64 v20, v[98:99] offset:21760                    // 0000000089C4: D89A5500 00006214
	ds_write_b64 v20, v[102:103] offset:26112                  // 0000000089CC: D89A6600 00006614
	ds_write_b64 v20, v[106:107] offset:2176                   // 0000000089D4: D89A0880 00006A14
	ds_write_b64 v20, v[110:111] offset:6528                   // 0000000089DC: D89A1980 00006E14
	ds_write_b64 v20, v[114:115] offset:10880                  // 0000000089E4: D89A2A80 00007214
	ds_write_b64 v20, v[118:119] offset:15232                  // 0000000089EC: D89A3B80 00007614
	ds_write_b64 v20, v[122:123] offset:19584                  // 0000000089F4: D89A4C80 00007A14
	ds_write_b64 v20, v[126:127] offset:23936                  // 0000000089FC: D89A5D80 00007E14
	ds_write_b64 v20, v[130:131] offset:28288                  // 000000008A04: D89A6E80 00008214
	s_waitcnt lgkmcnt(0)                                       // 000000008A0C: BF8CC07F
	s_barrier                                                  // 000000008A10: BF8A0000
	ds_read_b32 v78, v21                                       // 000000008A14: D86C0000 4E000015
	ds_read_b32 v79, v21 offset:64                             // 000000008A1C: D86C0040 4F000015
	ds_read_b32 v82, v21 offset:2176                           // 000000008A24: D86C0880 52000015
	ds_read_b32 v83, v21 offset:2240                           // 000000008A2C: D86C08C0 53000015
	ds_read_b32 v86, v21 offset:4352                           // 000000008A34: D86C1100 56000015
	ds_read_b32 v87, v21 offset:4416                           // 000000008A3C: D86C1140 57000015
	ds_read_b32 v90, v21 offset:6528                           // 000000008A44: D86C1980 5A000015
	ds_read_b32 v91, v21 offset:6592                           // 000000008A4C: D86C19C0 5B000015
	ds_read_b32 v94, v21 offset:8704                           // 000000008A54: D86C2200 5E000015
	ds_read_b32 v95, v21 offset:8768                           // 000000008A5C: D86C2240 5F000015
	ds_read_b32 v98, v21 offset:10880                          // 000000008A64: D86C2A80 62000015
	ds_read_b32 v99, v21 offset:10944                          // 000000008A6C: D86C2AC0 63000015
	ds_read_b32 v102, v21 offset:13056                         // 000000008A74: D86C3300 66000015
	ds_read_b32 v103, v21 offset:13120                         // 000000008A7C: D86C3340 67000015
	ds_read_b32 v106, v21 offset:15232                         // 000000008A84: D86C3B80 6A000015
	ds_read_b32 v107, v21 offset:15296                         // 000000008A8C: D86C3BC0 6B000015
	ds_read_b32 v110, v21 offset:17408                         // 000000008A94: D86C4400 6E000015
	ds_read_b32 v111, v21 offset:17472                         // 000000008A9C: D86C4440 6F000015
	ds_read_b32 v114, v21 offset:19584                         // 000000008AA4: D86C4C80 72000015
	ds_read_b32 v115, v21 offset:19648                         // 000000008AAC: D86C4CC0 73000015
	ds_read_b32 v118, v21 offset:21760                         // 000000008AB4: D86C5500 76000015
	ds_read_b32 v119, v21 offset:21824                         // 000000008ABC: D86C5540 77000015
	ds_read_b32 v122, v21 offset:23936                         // 000000008AC4: D86C5D80 7A000015
	ds_read_b32 v123, v21 offset:24000                         // 000000008ACC: D86C5DC0 7B000015
	ds_read_b32 v126, v21 offset:26112                         // 000000008AD4: D86C6600 7E000015
	ds_read_b32 v127, v21 offset:26176                         // 000000008ADC: D86C6640 7F000015
	ds_read_b32 v130, v21 offset:28288                         // 000000008AE4: D86C6E80 82000015
	ds_read_b32 v131, v21 offset:28352                         // 000000008AEC: D86C6EC0 83000015
	s_waitcnt lgkmcnt(0)                                       // 000000008AF4: BF8CC07F
	v_mov_b32_e32 v7, 0                                        // 000000008AF8: 7E0E0280
	s_mov_b64 exec, s[36:37]                                   // 000000008AFC: BEFE0124
	v_mov_b32_e32 v6, v58                                      // 000000008B00: 7E0C033A
	s_mov_b64 s[60:61], 0                                      // 000000008B04: BEBC0180
	v_readlane_b32 s82, v3, 0                                  // 000000008B08: D2890052 00010103
	s_and_b32 s82, s82, 0xffffff                               // 000000008B10: 8652FF52 00FFFFFF
	s_cmp_lt_u32 s82, s66                                      // 000000008B18: BF0A4252
	s_cselect_b32 s20, s36, s60                                // 000000008B1C: 85143C24
	v_readlane_b32 s82, v3, 1                                  // 000000008B20: D2890052 00010303
	s_and_b32 s82, s82, 0xffffff                               // 000000008B28: 8652FF52 00FFFFFF
	s_cmp_lt_u32 s82, s66                                      // 000000008B30: BF0A4252
	s_cselect_b32 s21, s36, s60                                // 000000008B34: 85153C24
	s_mov_b64 exec, s[20:21]                                   // 000000008B38: BEFE0114
	global_atomic_add_f32 v6, v78, s[8:9] offset:8             // 000000008B3C: DD348008 00084E06
	global_atomic_add_f32 v6, v82, s[8:9] offset:264           // 000000008B44: DD348108 00085206
	s_mov_b64 exec, s[36:37]                                   // 000000008B4C: BEFE0124
	v_mov_b32_e32 v6, v59                                      // 000000008B50: 7E0C033B
	s_mov_b64 s[60:61], 0                                      // 000000008B54: BEBC0180
	v_readlane_b32 s82, v3, 2                                  // 000000008B58: D2890052 00010503
	s_and_b32 s82, s82, 0xffffff                               // 000000008B60: 8652FF52 00FFFFFF
	s_cmp_lt_u32 s82, s66                                      // 000000008B68: BF0A4252
	s_cselect_b32 s20, s36, s60                                // 000000008B6C: 85143C24
	v_readlane_b32 s82, v3, 3                                  // 000000008B70: D2890052 00010703
	s_and_b32 s82, s82, 0xffffff                               // 000000008B78: 8652FF52 00FFFFFF
	s_cmp_lt_u32 s82, s66                                      // 000000008B80: BF0A4252
	s_cselect_b32 s21, s36, s60                                // 000000008B84: 85153C24
	s_mov_b64 exec, s[20:21]                                   // 000000008B88: BEFE0114
	global_atomic_add_f32 v6, v79, s[8:9] offset:8             // 000000008B8C: DD348008 00084F06
	global_atomic_add_f32 v6, v83, s[8:9] offset:264           // 000000008B94: DD348108 00085306
	s_mov_b64 exec, s[36:37]                                   // 000000008B9C: BEFE0124
	v_mov_b32_e32 v6, v60                                      // 000000008BA0: 7E0C033C
	s_mov_b64 s[60:61], 0                                      // 000000008BA4: BEBC0180
	v_readlane_b32 s82, v3, 4                                  // 000000008BA8: D2890052 00010903
	s_and_b32 s82, s82, 0xffffff                               // 000000008BB0: 8652FF52 00FFFFFF
	s_cmp_lt_u32 s82, s66                                      // 000000008BB8: BF0A4252
	s_cselect_b32 s20, s36, s60                                // 000000008BBC: 85143C24
	v_readlane_b32 s82, v3, 5                                  // 000000008BC0: D2890052 00010B03
	s_and_b32 s82, s82, 0xffffff                               // 000000008BC8: 8652FF52 00FFFFFF
	s_cmp_lt_u32 s82, s66                                      // 000000008BD0: BF0A4252
	s_cselect_b32 s21, s36, s60                                // 000000008BD4: 85153C24
	s_mov_b64 exec, s[20:21]                                   // 000000008BD8: BEFE0114
	global_atomic_add_f32 v6, v86, s[8:9] offset:8             // 000000008BDC: DD348008 00085606
	global_atomic_add_f32 v6, v90, s[8:9] offset:264           // 000000008BE4: DD348108 00085A06
	s_mov_b64 exec, s[36:37]                                   // 000000008BEC: BEFE0124
	v_mov_b32_e32 v6, v61                                      // 000000008BF0: 7E0C033D
	s_mov_b64 s[60:61], 0                                      // 000000008BF4: BEBC0180
	v_readlane_b32 s82, v3, 6                                  // 000000008BF8: D2890052 00010D03
	s_and_b32 s82, s82, 0xffffff                               // 000000008C00: 8652FF52 00FFFFFF
	s_cmp_lt_u32 s82, s66                                      // 000000008C08: BF0A4252
	s_cselect_b32 s20, s36, s60                                // 000000008C0C: 85143C24
	v_readlane_b32 s82, v3, 7                                  // 000000008C10: D2890052 00010F03
	s_and_b32 s82, s82, 0xffffff                               // 000000008C18: 8652FF52 00FFFFFF
	s_cmp_lt_u32 s82, s66                                      // 000000008C20: BF0A4252
	s_cselect_b32 s21, s36, s60                                // 000000008C24: 85153C24
	s_mov_b64 exec, s[20:21]                                   // 000000008C28: BEFE0114
	global_atomic_add_f32 v6, v87, s[8:9] offset:8             // 000000008C2C: DD348008 00085706
	global_atomic_add_f32 v6, v91, s[8:9] offset:264           // 000000008C34: DD348108 00085B06
	s_mov_b64 exec, s[36:37]                                   // 000000008C3C: BEFE0124
	v_mov_b32_e32 v6, v62                                      // 000000008C40: 7E0C033E
	s_mov_b64 s[60:61], 0                                      // 000000008C44: BEBC0180
	v_readlane_b32 s82, v3, 8                                  // 000000008C48: D2890052 00011103
	s_and_b32 s82, s82, 0xffffff                               // 000000008C50: 8652FF52 00FFFFFF
	s_cmp_lt_u32 s82, s66                                      // 000000008C58: BF0A4252
	s_cselect_b32 s20, s36, s60                                // 000000008C5C: 85143C24
	v_readlane_b32 s82, v3, 9                                  // 000000008C60: D2890052 00011303
	s_and_b32 s82, s82, 0xffffff                               // 000000008C68: 8652FF52 00FFFFFF
	s_cmp_lt_u32 s82, s66                                      // 000000008C70: BF0A4252
	s_cselect_b32 s21, s36, s60                                // 000000008C74: 85153C24
	s_mov_b64 exec, s[20:21]                                   // 000000008C78: BEFE0114
	global_atomic_add_f32 v6, v94, s[8:9] offset:8             // 000000008C7C: DD348008 00085E06
	global_atomic_add_f32 v6, v98, s[8:9] offset:264           // 000000008C84: DD348108 00086206
	s_mov_b64 exec, s[36:37]                                   // 000000008C8C: BEFE0124
	v_mov_b32_e32 v6, v63                                      // 000000008C90: 7E0C033F
	s_mov_b64 s[60:61], 0                                      // 000000008C94: BEBC0180
	v_readlane_b32 s82, v3, 10                                 // 000000008C98: D2890052 00011503
	s_and_b32 s82, s82, 0xffffff                               // 000000008CA0: 8652FF52 00FFFFFF
	s_cmp_lt_u32 s82, s66                                      // 000000008CA8: BF0A4252
	s_cselect_b32 s20, s36, s60                                // 000000008CAC: 85143C24
	v_readlane_b32 s82, v3, 11                                 // 000000008CB0: D2890052 00011703
	s_and_b32 s82, s82, 0xffffff                               // 000000008CB8: 8652FF52 00FFFFFF
	s_cmp_lt_u32 s82, s66                                      // 000000008CC0: BF0A4252
	s_cselect_b32 s21, s36, s60                                // 000000008CC4: 85153C24
	s_mov_b64 exec, s[20:21]                                   // 000000008CC8: BEFE0114
	global_atomic_add_f32 v6, v95, s[8:9] offset:8             // 000000008CCC: DD348008 00085F06
	global_atomic_add_f32 v6, v99, s[8:9] offset:264           // 000000008CD4: DD348108 00086306
	s_mov_b64 exec, s[36:37]                                   // 000000008CDC: BEFE0124
	v_mov_b32_e32 v6, v64                                      // 000000008CE0: 7E0C0340
	s_mov_b64 s[60:61], 0                                      // 000000008CE4: BEBC0180
	v_readlane_b32 s82, v3, 12                                 // 000000008CE8: D2890052 00011903
	s_and_b32 s82, s82, 0xffffff                               // 000000008CF0: 8652FF52 00FFFFFF
	s_cmp_lt_u32 s82, s66                                      // 000000008CF8: BF0A4252
	s_cselect_b32 s20, s36, s60                                // 000000008CFC: 85143C24
	v_readlane_b32 s82, v3, 13                                 // 000000008D00: D2890052 00011B03
	s_and_b32 s82, s82, 0xffffff                               // 000000008D08: 8652FF52 00FFFFFF
	s_cmp_lt_u32 s82, s66                                      // 000000008D10: BF0A4252
	s_cselect_b32 s21, s36, s60                                // 000000008D14: 85153C24
	s_mov_b64 exec, s[20:21]                                   // 000000008D18: BEFE0114
	global_atomic_add_f32 v6, v102, s[8:9] offset:8            // 000000008D1C: DD348008 00086606
	global_atomic_add_f32 v6, v106, s[8:9] offset:264          // 000000008D24: DD348108 00086A06
	s_mov_b64 exec, s[36:37]                                   // 000000008D2C: BEFE0124
	v_mov_b32_e32 v6, v65                                      // 000000008D30: 7E0C0341
	s_mov_b64 s[60:61], 0                                      // 000000008D34: BEBC0180
	v_readlane_b32 s82, v3, 14                                 // 000000008D38: D2890052 00011D03
	s_and_b32 s82, s82, 0xffffff                               // 000000008D40: 8652FF52 00FFFFFF
	s_cmp_lt_u32 s82, s66                                      // 000000008D48: BF0A4252
	s_cselect_b32 s20, s36, s60                                // 000000008D4C: 85143C24
	v_readlane_b32 s82, v3, 15                                 // 000000008D50: D2890052 00011F03
	s_and_b32 s82, s82, 0xffffff                               // 000000008D58: 8652FF52 00FFFFFF
	s_cmp_lt_u32 s82, s66                                      // 000000008D60: BF0A4252
	s_cselect_b32 s21, s36, s60                                // 000000008D64: 85153C24
	s_mov_b64 exec, s[20:21]                                   // 000000008D68: BEFE0114
	global_atomic_add_f32 v6, v103, s[8:9] offset:8            // 000000008D6C: DD348008 00086706
	global_atomic_add_f32 v6, v107, s[8:9] offset:264          // 000000008D74: DD348108 00086B06
	s_mov_b64 exec, s[36:37]                                   // 000000008D7C: BEFE0124
	v_mov_b32_e32 v6, v66                                      // 000000008D80: 7E0C0342
	s_mov_b64 s[60:61], 0                                      // 000000008D84: BEBC0180
	v_readlane_b32 s82, v3, 16                                 // 000000008D88: D2890052 00012103
	s_and_b32 s82, s82, 0xffffff                               // 000000008D90: 8652FF52 00FFFFFF
	s_cmp_lt_u32 s82, s66                                      // 000000008D98: BF0A4252
	s_cselect_b32 s20, s36, s60                                // 000000008D9C: 85143C24
	v_readlane_b32 s82, v3, 17                                 // 000000008DA0: D2890052 00012303
	s_and_b32 s82, s82, 0xffffff                               // 000000008DA8: 8652FF52 00FFFFFF
	s_cmp_lt_u32 s82, s66                                      // 000000008DB0: BF0A4252
	s_cselect_b32 s21, s36, s60                                // 000000008DB4: 85153C24
	s_mov_b64 exec, s[20:21]                                   // 000000008DB8: BEFE0114
	global_atomic_add_f32 v6, v110, s[8:9] offset:8            // 000000008DBC: DD348008 00086E06
	global_atomic_add_f32 v6, v114, s[8:9] offset:264          // 000000008DC4: DD348108 00087206
	s_mov_b64 exec, s[36:37]                                   // 000000008DCC: BEFE0124
	v_mov_b32_e32 v6, v67                                      // 000000008DD0: 7E0C0343
	s_mov_b64 s[60:61], 0                                      // 000000008DD4: BEBC0180
	v_readlane_b32 s82, v3, 18                                 // 000000008DD8: D2890052 00012503
	s_and_b32 s82, s82, 0xffffff                               // 000000008DE0: 8652FF52 00FFFFFF
	s_cmp_lt_u32 s82, s66                                      // 000000008DE8: BF0A4252
	s_cselect_b32 s20, s36, s60                                // 000000008DEC: 85143C24
	v_readlane_b32 s82, v3, 19                                 // 000000008DF0: D2890052 00012703
	s_and_b32 s82, s82, 0xffffff                               // 000000008DF8: 8652FF52 00FFFFFF
	s_cmp_lt_u32 s82, s66                                      // 000000008E00: BF0A4252
	s_cselect_b32 s21, s36, s60                                // 000000008E04: 85153C24
	s_mov_b64 exec, s[20:21]                                   // 000000008E08: BEFE0114
	global_atomic_add_f32 v6, v111, s[8:9] offset:8            // 000000008E0C: DD348008 00086F06
	global_atomic_add_f32 v6, v115, s[8:9] offset:264          // 000000008E14: DD348108 00087306
	s_mov_b64 exec, s[36:37]                                   // 000000008E1C: BEFE0124
	v_mov_b32_e32 v6, v68                                      // 000000008E20: 7E0C0344
	s_mov_b64 s[60:61], 0                                      // 000000008E24: BEBC0180
	v_readlane_b32 s82, v3, 20                                 // 000000008E28: D2890052 00012903
	s_and_b32 s82, s82, 0xffffff                               // 000000008E30: 8652FF52 00FFFFFF
	s_cmp_lt_u32 s82, s66                                      // 000000008E38: BF0A4252
	s_cselect_b32 s20, s36, s60                                // 000000008E3C: 85143C24
	v_readlane_b32 s82, v3, 21                                 // 000000008E40: D2890052 00012B03
	s_and_b32 s82, s82, 0xffffff                               // 000000008E48: 8652FF52 00FFFFFF
	s_cmp_lt_u32 s82, s66                                      // 000000008E50: BF0A4252
	s_cselect_b32 s21, s36, s60                                // 000000008E54: 85153C24
	s_mov_b64 exec, s[20:21]                                   // 000000008E58: BEFE0114
	global_atomic_add_f32 v6, v118, s[8:9] offset:8            // 000000008E5C: DD348008 00087606
	global_atomic_add_f32 v6, v122, s[8:9] offset:264          // 000000008E64: DD348108 00087A06
	s_mov_b64 exec, s[36:37]                                   // 000000008E6C: BEFE0124
	v_mov_b32_e32 v6, v69                                      // 000000008E70: 7E0C0345
	s_mov_b64 s[60:61], 0                                      // 000000008E74: BEBC0180
	v_readlane_b32 s82, v3, 22                                 // 000000008E78: D2890052 00012D03
	s_and_b32 s82, s82, 0xffffff                               // 000000008E80: 8652FF52 00FFFFFF
	s_cmp_lt_u32 s82, s66                                      // 000000008E88: BF0A4252
	s_cselect_b32 s20, s36, s60                                // 000000008E8C: 85143C24
	v_readlane_b32 s82, v3, 23                                 // 000000008E90: D2890052 00012F03
	s_and_b32 s82, s82, 0xffffff                               // 000000008E98: 8652FF52 00FFFFFF
	s_cmp_lt_u32 s82, s66                                      // 000000008EA0: BF0A4252
	s_cselect_b32 s21, s36, s60                                // 000000008EA4: 85153C24
	s_mov_b64 exec, s[20:21]                                   // 000000008EA8: BEFE0114
	global_atomic_add_f32 v6, v119, s[8:9] offset:8            // 000000008EAC: DD348008 00087706
	global_atomic_add_f32 v6, v123, s[8:9] offset:264          // 000000008EB4: DD348108 00087B06
	s_mov_b64 exec, s[36:37]                                   // 000000008EBC: BEFE0124
	v_mov_b32_e32 v6, v70                                      // 000000008EC0: 7E0C0346
	s_mov_b64 s[60:61], 0                                      // 000000008EC4: BEBC0180
	v_readlane_b32 s82, v3, 24                                 // 000000008EC8: D2890052 00013103
	s_and_b32 s82, s82, 0xffffff                               // 000000008ED0: 8652FF52 00FFFFFF
	s_cmp_lt_u32 s82, s66                                      // 000000008ED8: BF0A4252
	s_cselect_b32 s20, s36, s60                                // 000000008EDC: 85143C24
	v_readlane_b32 s82, v3, 25                                 // 000000008EE0: D2890052 00013303
	s_and_b32 s82, s82, 0xffffff                               // 000000008EE8: 8652FF52 00FFFFFF
	s_cmp_lt_u32 s82, s66                                      // 000000008EF0: BF0A4252
	s_cselect_b32 s21, s36, s60                                // 000000008EF4: 85153C24
	s_mov_b64 exec, s[20:21]                                   // 000000008EF8: BEFE0114
	global_atomic_add_f32 v6, v126, s[8:9] offset:8            // 000000008EFC: DD348008 00087E06
	global_atomic_add_f32 v6, v130, s[8:9] offset:264          // 000000008F04: DD348108 00088206
	s_mov_b64 exec, s[36:37]                                   // 000000008F0C: BEFE0124
	v_mov_b32_e32 v6, v71                                      // 000000008F10: 7E0C0347
	s_mov_b64 s[60:61], 0                                      // 000000008F14: BEBC0180
	v_readlane_b32 s82, v3, 26                                 // 000000008F18: D2890052 00013503
	s_and_b32 s82, s82, 0xffffff                               // 000000008F20: 8652FF52 00FFFFFF
	s_cmp_lt_u32 s82, s66                                      // 000000008F28: BF0A4252
	s_cselect_b32 s20, s36, s60                                // 000000008F2C: 85143C24
	v_readlane_b32 s82, v3, 27                                 // 000000008F30: D2890052 00013703
	s_and_b32 s82, s82, 0xffffff                               // 000000008F38: 8652FF52 00FFFFFF
	s_cmp_lt_u32 s82, s66                                      // 000000008F40: BF0A4252
	s_cselect_b32 s21, s36, s60                                // 000000008F44: 85153C24
	s_mov_b64 exec, s[20:21]                                   // 000000008F48: BEFE0114
	global_atomic_add_f32 v6, v127, s[8:9] offset:8            // 000000008F4C: DD348008 00087F06
	global_atomic_add_f32 v6, v131, s[8:9] offset:264          // 000000008F54: DD348108 00088306
	s_mov_b64 exec, s[36:37]                                   // 000000008F5C: BEFE0124
	ds_write_b64 v20, v[132:133]                               // 000000008F60: D89A0000 00008414
	ds_write_b64 v20, v[136:137] offset:4352                   // 000000008F68: D89A1100 00008814
	ds_write_b64 v20, v[140:141] offset:8704                   // 000000008F70: D89A2200 00008C14
	ds_write_b64 v20, v[144:145] offset:13056                  // 000000008F78: D89A3300 00009014
	ds_write_b64 v20, v[148:149] offset:17408                  // 000000008F80: D89A4400 00009414
	ds_write_b64 v20, v[152:153] offset:21760                  // 000000008F88: D89A5500 00009814
	ds_write_b64 v20, v[156:157] offset:26112                  // 000000008F90: D89A6600 00009C14
	ds_write_b64 v20, v[160:161] offset:2176                   // 000000008F98: D89A0880 0000A014
	ds_write_b64 v20, v[164:165] offset:6528                   // 000000008FA0: D89A1980 0000A414
	ds_write_b64 v20, v[168:169] offset:10880                  // 000000008FA8: D89A2A80 0000A814
	ds_write_b64 v20, v[172:173] offset:15232                  // 000000008FB0: D89A3B80 0000AC14
	ds_write_b64 v20, v[176:177] offset:19584                  // 000000008FB8: D89A4C80 0000B014
	ds_write_b64 v20, v[180:181] offset:23936                  // 000000008FC0: D89A5D80 0000B414
	ds_write_b64 v20, v[184:185] offset:28288                  // 000000008FC8: D89A6E80 0000B814
	s_waitcnt lgkmcnt(0)                                       // 000000008FD0: BF8CC07F
	s_barrier                                                  // 000000008FD4: BF8A0000
	ds_read_b32 v132, v21                                      // 000000008FD8: D86C0000 84000015
	ds_read_b32 v133, v21 offset:64                            // 000000008FE0: D86C0040 85000015
	ds_read_b32 v136, v21 offset:2176                          // 000000008FE8: D86C0880 88000015
	ds_read_b32 v137, v21 offset:2240                          // 000000008FF0: D86C08C0 89000015
	ds_read_b32 v140, v21 offset:4352                          // 000000008FF8: D86C1100 8C000015
	ds_read_b32 v141, v21 offset:4416                          // 000000009000: D86C1140 8D000015
	ds_read_b32 v144, v21 offset:6528                          // 000000009008: D86C1980 90000015
	ds_read_b32 v145, v21 offset:6592                          // 000000009010: D86C19C0 91000015
	ds_read_b32 v148, v21 offset:8704                          // 000000009018: D86C2200 94000015
	ds_read_b32 v149, v21 offset:8768                          // 000000009020: D86C2240 95000015
	ds_read_b32 v152, v21 offset:10880                         // 000000009028: D86C2A80 98000015
	ds_read_b32 v153, v21 offset:10944                         // 000000009030: D86C2AC0 99000015
	ds_read_b32 v156, v21 offset:13056                         // 000000009038: D86C3300 9C000015
	ds_read_b32 v157, v21 offset:13120                         // 000000009040: D86C3340 9D000015
	ds_read_b32 v160, v21 offset:15232                         // 000000009048: D86C3B80 A0000015
	ds_read_b32 v161, v21 offset:15296                         // 000000009050: D86C3BC0 A1000015
	ds_read_b32 v164, v21 offset:17408                         // 000000009058: D86C4400 A4000015
	ds_read_b32 v165, v21 offset:17472                         // 000000009060: D86C4440 A5000015
	ds_read_b32 v168, v21 offset:19584                         // 000000009068: D86C4C80 A8000015
	ds_read_b32 v169, v21 offset:19648                         // 000000009070: D86C4CC0 A9000015
	ds_read_b32 v172, v21 offset:21760                         // 000000009078: D86C5500 AC000015
	ds_read_b32 v173, v21 offset:21824                         // 000000009080: D86C5540 AD000015
	ds_read_b32 v176, v21 offset:23936                         // 000000009088: D86C5D80 B0000015
	ds_read_b32 v177, v21 offset:24000                         // 000000009090: D86C5DC0 B1000015
	ds_read_b32 v180, v21 offset:26112                         // 000000009098: D86C6600 B4000015
	ds_read_b32 v181, v21 offset:26176                         // 0000000090A0: D86C6640 B5000015
	ds_read_b32 v184, v21 offset:28288                         // 0000000090A8: D86C6E80 B8000015
	ds_read_b32 v185, v21 offset:28352                         // 0000000090B0: D86C6EC0 B9000015
	s_mul_i32 s60, s65, 4                                      // 0000000090B8: 923C8441
	s_add_u32 s8, s60, s8                                      // 0000000090BC: 8008083C
	s_addc_u32 s9, 0, s9                                       // 0000000090C0: 82090980
	s_waitcnt lgkmcnt(0)                                       // 0000000090C4: BF8CC07F
	v_mov_b32_e32 v7, 0                                        // 0000000090C8: 7E0E0280
	s_mov_b64 exec, s[36:37]                                   // 0000000090CC: BEFE0124
	v_mov_b32_e32 v6, v58                                      // 0000000090D0: 7E0C033A
	s_mov_b64 s[60:61], 0                                      // 0000000090D4: BEBC0180
	v_readlane_b32 s82, v3, 0                                  // 0000000090D8: D2890052 00010103
	s_and_b32 s82, s82, 0xffffff                               // 0000000090E0: 8652FF52 00FFFFFF
	s_cmp_lt_u32 s82, s66                                      // 0000000090E8: BF0A4252
	s_cselect_b32 s20, s36, s60                                // 0000000090EC: 85143C24
	v_readlane_b32 s82, v3, 1                                  // 0000000090F0: D2890052 00010303
	s_and_b32 s82, s82, 0xffffff                               // 0000000090F8: 8652FF52 00FFFFFF
	s_cmp_lt_u32 s82, s66                                      // 000000009100: BF0A4252
	s_cselect_b32 s21, s36, s60                                // 000000009104: 85153C24
	s_mov_b64 exec, s[20:21]                                   // 000000009108: BEFE0114
	global_atomic_add_f32 v6, v132, s[8:9]                     // 00000000910C: DD348000 00088406
	global_atomic_add_f32 v6, v136, s[8:9] offset:256          // 000000009114: DD348100 00088806
	s_mov_b64 exec, s[36:37]                                   // 00000000911C: BEFE0124
	v_mov_b32_e32 v6, v59                                      // 000000009120: 7E0C033B
	s_mov_b64 s[60:61], 0                                      // 000000009124: BEBC0180
	v_readlane_b32 s82, v3, 2                                  // 000000009128: D2890052 00010503
	s_and_b32 s82, s82, 0xffffff                               // 000000009130: 8652FF52 00FFFFFF
	s_cmp_lt_u32 s82, s66                                      // 000000009138: BF0A4252
	s_cselect_b32 s20, s36, s60                                // 00000000913C: 85143C24
	v_readlane_b32 s82, v3, 3                                  // 000000009140: D2890052 00010703
	s_and_b32 s82, s82, 0xffffff                               // 000000009148: 8652FF52 00FFFFFF
	s_cmp_lt_u32 s82, s66                                      // 000000009150: BF0A4252
	s_cselect_b32 s21, s36, s60                                // 000000009154: 85153C24
	s_mov_b64 exec, s[20:21]                                   // 000000009158: BEFE0114
	global_atomic_add_f32 v6, v133, s[8:9]                     // 00000000915C: DD348000 00088506
	global_atomic_add_f32 v6, v137, s[8:9] offset:256          // 000000009164: DD348100 00088906
	s_mov_b64 exec, s[36:37]                                   // 00000000916C: BEFE0124
	v_mov_b32_e32 v6, v60                                      // 000000009170: 7E0C033C
	s_mov_b64 s[60:61], 0                                      // 000000009174: BEBC0180
	v_readlane_b32 s82, v3, 4                                  // 000000009178: D2890052 00010903
	s_and_b32 s82, s82, 0xffffff                               // 000000009180: 8652FF52 00FFFFFF
	s_cmp_lt_u32 s82, s66                                      // 000000009188: BF0A4252
	s_cselect_b32 s20, s36, s60                                // 00000000918C: 85143C24
	v_readlane_b32 s82, v3, 5                                  // 000000009190: D2890052 00010B03
	s_and_b32 s82, s82, 0xffffff                               // 000000009198: 8652FF52 00FFFFFF
	s_cmp_lt_u32 s82, s66                                      // 0000000091A0: BF0A4252
	s_cselect_b32 s21, s36, s60                                // 0000000091A4: 85153C24
	s_mov_b64 exec, s[20:21]                                   // 0000000091A8: BEFE0114
	global_atomic_add_f32 v6, v140, s[8:9]                     // 0000000091AC: DD348000 00088C06
	global_atomic_add_f32 v6, v144, s[8:9] offset:256          // 0000000091B4: DD348100 00089006
	s_mov_b64 exec, s[36:37]                                   // 0000000091BC: BEFE0124
	v_mov_b32_e32 v6, v61                                      // 0000000091C0: 7E0C033D
	s_mov_b64 s[60:61], 0                                      // 0000000091C4: BEBC0180
	v_readlane_b32 s82, v3, 6                                  // 0000000091C8: D2890052 00010D03
	s_and_b32 s82, s82, 0xffffff                               // 0000000091D0: 8652FF52 00FFFFFF
	s_cmp_lt_u32 s82, s66                                      // 0000000091D8: BF0A4252
	s_cselect_b32 s20, s36, s60                                // 0000000091DC: 85143C24
	v_readlane_b32 s82, v3, 7                                  // 0000000091E0: D2890052 00010F03
	s_and_b32 s82, s82, 0xffffff                               // 0000000091E8: 8652FF52 00FFFFFF
	s_cmp_lt_u32 s82, s66                                      // 0000000091F0: BF0A4252
	s_cselect_b32 s21, s36, s60                                // 0000000091F4: 85153C24
	s_mov_b64 exec, s[20:21]                                   // 0000000091F8: BEFE0114
	global_atomic_add_f32 v6, v141, s[8:9]                     // 0000000091FC: DD348000 00088D06
	global_atomic_add_f32 v6, v145, s[8:9] offset:256          // 000000009204: DD348100 00089106
	s_mov_b64 exec, s[36:37]                                   // 00000000920C: BEFE0124
	v_mov_b32_e32 v6, v62                                      // 000000009210: 7E0C033E
	s_mov_b64 s[60:61], 0                                      // 000000009214: BEBC0180
	v_readlane_b32 s82, v3, 8                                  // 000000009218: D2890052 00011103
	s_and_b32 s82, s82, 0xffffff                               // 000000009220: 8652FF52 00FFFFFF
	s_cmp_lt_u32 s82, s66                                      // 000000009228: BF0A4252
	s_cselect_b32 s20, s36, s60                                // 00000000922C: 85143C24
	v_readlane_b32 s82, v3, 9                                  // 000000009230: D2890052 00011303
	s_and_b32 s82, s82, 0xffffff                               // 000000009238: 8652FF52 00FFFFFF
	s_cmp_lt_u32 s82, s66                                      // 000000009240: BF0A4252
	s_cselect_b32 s21, s36, s60                                // 000000009244: 85153C24
	s_mov_b64 exec, s[20:21]                                   // 000000009248: BEFE0114
	global_atomic_add_f32 v6, v148, s[8:9]                     // 00000000924C: DD348000 00089406
	global_atomic_add_f32 v6, v152, s[8:9] offset:256          // 000000009254: DD348100 00089806
	s_mov_b64 exec, s[36:37]                                   // 00000000925C: BEFE0124
	v_mov_b32_e32 v6, v63                                      // 000000009260: 7E0C033F
	s_mov_b64 s[60:61], 0                                      // 000000009264: BEBC0180
	v_readlane_b32 s82, v3, 10                                 // 000000009268: D2890052 00011503
	s_and_b32 s82, s82, 0xffffff                               // 000000009270: 8652FF52 00FFFFFF
	s_cmp_lt_u32 s82, s66                                      // 000000009278: BF0A4252
	s_cselect_b32 s20, s36, s60                                // 00000000927C: 85143C24
	v_readlane_b32 s82, v3, 11                                 // 000000009280: D2890052 00011703
	s_and_b32 s82, s82, 0xffffff                               // 000000009288: 8652FF52 00FFFFFF
	s_cmp_lt_u32 s82, s66                                      // 000000009290: BF0A4252
	s_cselect_b32 s21, s36, s60                                // 000000009294: 85153C24
	s_mov_b64 exec, s[20:21]                                   // 000000009298: BEFE0114
	global_atomic_add_f32 v6, v149, s[8:9]                     // 00000000929C: DD348000 00089506
	global_atomic_add_f32 v6, v153, s[8:9] offset:256          // 0000000092A4: DD348100 00089906
	s_mov_b64 exec, s[36:37]                                   // 0000000092AC: BEFE0124
	v_mov_b32_e32 v6, v64                                      // 0000000092B0: 7E0C0340
	s_mov_b64 s[60:61], 0                                      // 0000000092B4: BEBC0180
	v_readlane_b32 s82, v3, 12                                 // 0000000092B8: D2890052 00011903
	s_and_b32 s82, s82, 0xffffff                               // 0000000092C0: 8652FF52 00FFFFFF
	s_cmp_lt_u32 s82, s66                                      // 0000000092C8: BF0A4252
	s_cselect_b32 s20, s36, s60                                // 0000000092CC: 85143C24
	v_readlane_b32 s82, v3, 13                                 // 0000000092D0: D2890052 00011B03
	s_and_b32 s82, s82, 0xffffff                               // 0000000092D8: 8652FF52 00FFFFFF
	s_cmp_lt_u32 s82, s66                                      // 0000000092E0: BF0A4252
	s_cselect_b32 s21, s36, s60                                // 0000000092E4: 85153C24
	s_mov_b64 exec, s[20:21]                                   // 0000000092E8: BEFE0114
	global_atomic_add_f32 v6, v156, s[8:9]                     // 0000000092EC: DD348000 00089C06
	global_atomic_add_f32 v6, v160, s[8:9] offset:256          // 0000000092F4: DD348100 0008A006
	s_mov_b64 exec, s[36:37]                                   // 0000000092FC: BEFE0124
	v_mov_b32_e32 v6, v65                                      // 000000009300: 7E0C0341
	s_mov_b64 s[60:61], 0                                      // 000000009304: BEBC0180
	v_readlane_b32 s82, v3, 14                                 // 000000009308: D2890052 00011D03
	s_and_b32 s82, s82, 0xffffff                               // 000000009310: 8652FF52 00FFFFFF
	s_cmp_lt_u32 s82, s66                                      // 000000009318: BF0A4252
	s_cselect_b32 s20, s36, s60                                // 00000000931C: 85143C24
	v_readlane_b32 s82, v3, 15                                 // 000000009320: D2890052 00011F03
	s_and_b32 s82, s82, 0xffffff                               // 000000009328: 8652FF52 00FFFFFF
	s_cmp_lt_u32 s82, s66                                      // 000000009330: BF0A4252
	s_cselect_b32 s21, s36, s60                                // 000000009334: 85153C24
	s_mov_b64 exec, s[20:21]                                   // 000000009338: BEFE0114
	global_atomic_add_f32 v6, v157, s[8:9]                     // 00000000933C: DD348000 00089D06
	global_atomic_add_f32 v6, v161, s[8:9] offset:256          // 000000009344: DD348100 0008A106
	s_mov_b64 exec, s[36:37]                                   // 00000000934C: BEFE0124
	v_mov_b32_e32 v6, v66                                      // 000000009350: 7E0C0342
	s_mov_b64 s[60:61], 0                                      // 000000009354: BEBC0180
	v_readlane_b32 s82, v3, 16                                 // 000000009358: D2890052 00012103
	s_and_b32 s82, s82, 0xffffff                               // 000000009360: 8652FF52 00FFFFFF
	s_cmp_lt_u32 s82, s66                                      // 000000009368: BF0A4252
	s_cselect_b32 s20, s36, s60                                // 00000000936C: 85143C24
	v_readlane_b32 s82, v3, 17                                 // 000000009370: D2890052 00012303
	s_and_b32 s82, s82, 0xffffff                               // 000000009378: 8652FF52 00FFFFFF
	s_cmp_lt_u32 s82, s66                                      // 000000009380: BF0A4252
	s_cselect_b32 s21, s36, s60                                // 000000009384: 85153C24
	s_mov_b64 exec, s[20:21]                                   // 000000009388: BEFE0114
	global_atomic_add_f32 v6, v164, s[8:9]                     // 00000000938C: DD348000 0008A406
	global_atomic_add_f32 v6, v168, s[8:9] offset:256          // 000000009394: DD348100 0008A806
	s_mov_b64 exec, s[36:37]                                   // 00000000939C: BEFE0124
	v_mov_b32_e32 v6, v67                                      // 0000000093A0: 7E0C0343
	s_mov_b64 s[60:61], 0                                      // 0000000093A4: BEBC0180
	v_readlane_b32 s82, v3, 18                                 // 0000000093A8: D2890052 00012503
	s_and_b32 s82, s82, 0xffffff                               // 0000000093B0: 8652FF52 00FFFFFF
	s_cmp_lt_u32 s82, s66                                      // 0000000093B8: BF0A4252
	s_cselect_b32 s20, s36, s60                                // 0000000093BC: 85143C24
	v_readlane_b32 s82, v3, 19                                 // 0000000093C0: D2890052 00012703
	s_and_b32 s82, s82, 0xffffff                               // 0000000093C8: 8652FF52 00FFFFFF
	s_cmp_lt_u32 s82, s66                                      // 0000000093D0: BF0A4252
	s_cselect_b32 s21, s36, s60                                // 0000000093D4: 85153C24
	s_mov_b64 exec, s[20:21]                                   // 0000000093D8: BEFE0114
	global_atomic_add_f32 v6, v165, s[8:9]                     // 0000000093DC: DD348000 0008A506
	global_atomic_add_f32 v6, v169, s[8:9] offset:256          // 0000000093E4: DD348100 0008A906
	s_mov_b64 exec, s[36:37]                                   // 0000000093EC: BEFE0124
	v_mov_b32_e32 v6, v68                                      // 0000000093F0: 7E0C0344
	s_mov_b64 s[60:61], 0                                      // 0000000093F4: BEBC0180
	v_readlane_b32 s82, v3, 20                                 // 0000000093F8: D2890052 00012903
	s_and_b32 s82, s82, 0xffffff                               // 000000009400: 8652FF52 00FFFFFF
	s_cmp_lt_u32 s82, s66                                      // 000000009408: BF0A4252
	s_cselect_b32 s20, s36, s60                                // 00000000940C: 85143C24
	v_readlane_b32 s82, v3, 21                                 // 000000009410: D2890052 00012B03
	s_and_b32 s82, s82, 0xffffff                               // 000000009418: 8652FF52 00FFFFFF
	s_cmp_lt_u32 s82, s66                                      // 000000009420: BF0A4252
	s_cselect_b32 s21, s36, s60                                // 000000009424: 85153C24
	s_mov_b64 exec, s[20:21]                                   // 000000009428: BEFE0114
	global_atomic_add_f32 v6, v172, s[8:9]                     // 00000000942C: DD348000 0008AC06
	global_atomic_add_f32 v6, v176, s[8:9] offset:256          // 000000009434: DD348100 0008B006
	s_mov_b64 exec, s[36:37]                                   // 00000000943C: BEFE0124
	v_mov_b32_e32 v6, v69                                      // 000000009440: 7E0C0345
	s_mov_b64 s[60:61], 0                                      // 000000009444: BEBC0180
	v_readlane_b32 s82, v3, 22                                 // 000000009448: D2890052 00012D03
	s_and_b32 s82, s82, 0xffffff                               // 000000009450: 8652FF52 00FFFFFF
	s_cmp_lt_u32 s82, s66                                      // 000000009458: BF0A4252
	s_cselect_b32 s20, s36, s60                                // 00000000945C: 85143C24
	v_readlane_b32 s82, v3, 23                                 // 000000009460: D2890052 00012F03
	s_and_b32 s82, s82, 0xffffff                               // 000000009468: 8652FF52 00FFFFFF
	s_cmp_lt_u32 s82, s66                                      // 000000009470: BF0A4252
	s_cselect_b32 s21, s36, s60                                // 000000009474: 85153C24
	s_mov_b64 exec, s[20:21]                                   // 000000009478: BEFE0114
	global_atomic_add_f32 v6, v173, s[8:9]                     // 00000000947C: DD348000 0008AD06
	global_atomic_add_f32 v6, v177, s[8:9] offset:256          // 000000009484: DD348100 0008B106
	s_mov_b64 exec, s[36:37]                                   // 00000000948C: BEFE0124
	v_mov_b32_e32 v6, v70                                      // 000000009490: 7E0C0346
	s_mov_b64 s[60:61], 0                                      // 000000009494: BEBC0180
	v_readlane_b32 s82, v3, 24                                 // 000000009498: D2890052 00013103
	s_and_b32 s82, s82, 0xffffff                               // 0000000094A0: 8652FF52 00FFFFFF
	s_cmp_lt_u32 s82, s66                                      // 0000000094A8: BF0A4252
	s_cselect_b32 s20, s36, s60                                // 0000000094AC: 85143C24
	v_readlane_b32 s82, v3, 25                                 // 0000000094B0: D2890052 00013303
	s_and_b32 s82, s82, 0xffffff                               // 0000000094B8: 8652FF52 00FFFFFF
	s_cmp_lt_u32 s82, s66                                      // 0000000094C0: BF0A4252
	s_cselect_b32 s21, s36, s60                                // 0000000094C4: 85153C24
	s_mov_b64 exec, s[20:21]                                   // 0000000094C8: BEFE0114
	global_atomic_add_f32 v6, v180, s[8:9]                     // 0000000094CC: DD348000 0008B406
	global_atomic_add_f32 v6, v184, s[8:9] offset:256          // 0000000094D4: DD348100 0008B806
	s_mov_b64 exec, s[36:37]                                   // 0000000094DC: BEFE0124
	v_mov_b32_e32 v6, v71                                      // 0000000094E0: 7E0C0347
	s_mov_b64 s[60:61], 0                                      // 0000000094E4: BEBC0180
	v_readlane_b32 s82, v3, 26                                 // 0000000094E8: D2890052 00013503
	s_and_b32 s82, s82, 0xffffff                               // 0000000094F0: 8652FF52 00FFFFFF
	s_cmp_lt_u32 s82, s66                                      // 0000000094F8: BF0A4252
	s_cselect_b32 s20, s36, s60                                // 0000000094FC: 85143C24
	v_readlane_b32 s82, v3, 27                                 // 000000009500: D2890052 00013703
	s_and_b32 s82, s82, 0xffffff                               // 000000009508: 8652FF52 00FFFFFF
	s_cmp_lt_u32 s82, s66                                      // 000000009510: BF0A4252
	s_cselect_b32 s21, s36, s60                                // 000000009514: 85153C24
	s_mov_b64 exec, s[20:21]                                   // 000000009518: BEFE0114
	global_atomic_add_f32 v6, v181, s[8:9]                     // 00000000951C: DD348000 0008B506
	global_atomic_add_f32 v6, v185, s[8:9] offset:256          // 000000009524: DD348100 0008B906
	s_mov_b64 exec, s[36:37]                                   // 00000000952C: BEFE0124
	ds_write_b64 v20, v[134:135]                               // 000000009530: D89A0000 00008614
	ds_write_b64 v20, v[138:139] offset:4352                   // 000000009538: D89A1100 00008A14
	ds_write_b64 v20, v[142:143] offset:8704                   // 000000009540: D89A2200 00008E14
	ds_write_b64 v20, v[146:147] offset:13056                  // 000000009548: D89A3300 00009214
	ds_write_b64 v20, v[150:151] offset:17408                  // 000000009550: D89A4400 00009614
	ds_write_b64 v20, v[154:155] offset:21760                  // 000000009558: D89A5500 00009A14
	ds_write_b64 v20, v[158:159] offset:26112                  // 000000009560: D89A6600 00009E14
	ds_write_b64 v20, v[162:163] offset:2176                   // 000000009568: D89A0880 0000A214
	ds_write_b64 v20, v[166:167] offset:6528                   // 000000009570: D89A1980 0000A614
	ds_write_b64 v20, v[170:171] offset:10880                  // 000000009578: D89A2A80 0000AA14
	ds_write_b64 v20, v[174:175] offset:15232                  // 000000009580: D89A3B80 0000AE14
	ds_write_b64 v20, v[178:179] offset:19584                  // 000000009588: D89A4C80 0000B214
	ds_write_b64 v20, v[182:183] offset:23936                  // 000000009590: D89A5D80 0000B614
	ds_write_b64 v20, v[186:187] offset:28288                  // 000000009598: D89A6E80 0000BA14
	s_waitcnt lgkmcnt(0)                                       // 0000000095A0: BF8CC07F
	s_barrier                                                  // 0000000095A4: BF8A0000
	ds_read_b32 v134, v21                                      // 0000000095A8: D86C0000 86000015
	ds_read_b32 v135, v21 offset:64                            // 0000000095B0: D86C0040 87000015
	ds_read_b32 v138, v21 offset:2176                          // 0000000095B8: D86C0880 8A000015
	ds_read_b32 v139, v21 offset:2240                          // 0000000095C0: D86C08C0 8B000015
	ds_read_b32 v142, v21 offset:4352                          // 0000000095C8: D86C1100 8E000015
	ds_read_b32 v143, v21 offset:4416                          // 0000000095D0: D86C1140 8F000015
	ds_read_b32 v146, v21 offset:6528                          // 0000000095D8: D86C1980 92000015
	ds_read_b32 v147, v21 offset:6592                          // 0000000095E0: D86C19C0 93000015
	ds_read_b32 v150, v21 offset:8704                          // 0000000095E8: D86C2200 96000015
	ds_read_b32 v151, v21 offset:8768                          // 0000000095F0: D86C2240 97000015
	ds_read_b32 v154, v21 offset:10880                         // 0000000095F8: D86C2A80 9A000015
	ds_read_b32 v155, v21 offset:10944                         // 000000009600: D86C2AC0 9B000015
	ds_read_b32 v158, v21 offset:13056                         // 000000009608: D86C3300 9E000015
	ds_read_b32 v159, v21 offset:13120                         // 000000009610: D86C3340 9F000015
	ds_read_b32 v162, v21 offset:15232                         // 000000009618: D86C3B80 A2000015
	ds_read_b32 v163, v21 offset:15296                         // 000000009620: D86C3BC0 A3000015
	ds_read_b32 v166, v21 offset:17408                         // 000000009628: D86C4400 A6000015
	ds_read_b32 v167, v21 offset:17472                         // 000000009630: D86C4440 A7000015
	ds_read_b32 v170, v21 offset:19584                         // 000000009638: D86C4C80 AA000015
	ds_read_b32 v171, v21 offset:19648                         // 000000009640: D86C4CC0 AB000015
	ds_read_b32 v174, v21 offset:21760                         // 000000009648: D86C5500 AE000015
	ds_read_b32 v175, v21 offset:21824                         // 000000009650: D86C5540 AF000015
	ds_read_b32 v178, v21 offset:23936                         // 000000009658: D86C5D80 B2000015
	ds_read_b32 v179, v21 offset:24000                         // 000000009660: D86C5DC0 B3000015
	ds_read_b32 v182, v21 offset:26112                         // 000000009668: D86C6600 B6000015
	ds_read_b32 v183, v21 offset:26176                         // 000000009670: D86C6640 B7000015
	ds_read_b32 v186, v21 offset:28288                         // 000000009678: D86C6E80 BA000015
	ds_read_b32 v187, v21 offset:28352                         // 000000009680: D86C6EC0 BB000015
	s_waitcnt lgkmcnt(0)                                       // 000000009688: BF8CC07F
	v_mov_b32_e32 v7, 0                                        // 00000000968C: 7E0E0280
	s_mov_b64 exec, s[36:37]                                   // 000000009690: BEFE0124
	v_mov_b32_e32 v6, v58                                      // 000000009694: 7E0C033A
	s_mov_b64 s[60:61], 0                                      // 000000009698: BEBC0180
	v_readlane_b32 s82, v3, 0                                  // 00000000969C: D2890052 00010103
	s_and_b32 s82, s82, 0xffffff                               // 0000000096A4: 8652FF52 00FFFFFF
	s_cmp_lt_u32 s82, s66                                      // 0000000096AC: BF0A4252
	s_cselect_b32 s20, s36, s60                                // 0000000096B0: 85143C24
	v_readlane_b32 s82, v3, 1                                  // 0000000096B4: D2890052 00010303
	s_and_b32 s82, s82, 0xffffff                               // 0000000096BC: 8652FF52 00FFFFFF
	s_cmp_lt_u32 s82, s66                                      // 0000000096C4: BF0A4252
	s_cselect_b32 s21, s36, s60                                // 0000000096C8: 85153C24
	s_mov_b64 exec, s[20:21]                                   // 0000000096CC: BEFE0114
	global_atomic_add_f32 v6, v134, s[8:9] offset:8            // 0000000096D0: DD348008 00088606
	global_atomic_add_f32 v6, v138, s[8:9] offset:264          // 0000000096D8: DD348108 00088A06
	s_mov_b64 exec, s[36:37]                                   // 0000000096E0: BEFE0124
	v_mov_b32_e32 v6, v59                                      // 0000000096E4: 7E0C033B
	s_mov_b64 s[60:61], 0                                      // 0000000096E8: BEBC0180
	v_readlane_b32 s82, v3, 2                                  // 0000000096EC: D2890052 00010503
	s_and_b32 s82, s82, 0xffffff                               // 0000000096F4: 8652FF52 00FFFFFF
	s_cmp_lt_u32 s82, s66                                      // 0000000096FC: BF0A4252
	s_cselect_b32 s20, s36, s60                                // 000000009700: 85143C24
	v_readlane_b32 s82, v3, 3                                  // 000000009704: D2890052 00010703
	s_and_b32 s82, s82, 0xffffff                               // 00000000970C: 8652FF52 00FFFFFF
	s_cmp_lt_u32 s82, s66                                      // 000000009714: BF0A4252
	s_cselect_b32 s21, s36, s60                                // 000000009718: 85153C24
	s_mov_b64 exec, s[20:21]                                   // 00000000971C: BEFE0114
	global_atomic_add_f32 v6, v135, s[8:9] offset:8            // 000000009720: DD348008 00088706
	global_atomic_add_f32 v6, v139, s[8:9] offset:264          // 000000009728: DD348108 00088B06
	s_mov_b64 exec, s[36:37]                                   // 000000009730: BEFE0124
	v_mov_b32_e32 v6, v60                                      // 000000009734: 7E0C033C
	s_mov_b64 s[60:61], 0                                      // 000000009738: BEBC0180
	v_readlane_b32 s82, v3, 4                                  // 00000000973C: D2890052 00010903
	s_and_b32 s82, s82, 0xffffff                               // 000000009744: 8652FF52 00FFFFFF
	s_cmp_lt_u32 s82, s66                                      // 00000000974C: BF0A4252
	s_cselect_b32 s20, s36, s60                                // 000000009750: 85143C24
	v_readlane_b32 s82, v3, 5                                  // 000000009754: D2890052 00010B03
	s_and_b32 s82, s82, 0xffffff                               // 00000000975C: 8652FF52 00FFFFFF
	s_cmp_lt_u32 s82, s66                                      // 000000009764: BF0A4252
	s_cselect_b32 s21, s36, s60                                // 000000009768: 85153C24
	s_mov_b64 exec, s[20:21]                                   // 00000000976C: BEFE0114
	global_atomic_add_f32 v6, v142, s[8:9] offset:8            // 000000009770: DD348008 00088E06
	global_atomic_add_f32 v6, v146, s[8:9] offset:264          // 000000009778: DD348108 00089206
	s_mov_b64 exec, s[36:37]                                   // 000000009780: BEFE0124
	v_mov_b32_e32 v6, v61                                      // 000000009784: 7E0C033D
	s_mov_b64 s[60:61], 0                                      // 000000009788: BEBC0180
	v_readlane_b32 s82, v3, 6                                  // 00000000978C: D2890052 00010D03
	s_and_b32 s82, s82, 0xffffff                               // 000000009794: 8652FF52 00FFFFFF
	s_cmp_lt_u32 s82, s66                                      // 00000000979C: BF0A4252
	s_cselect_b32 s20, s36, s60                                // 0000000097A0: 85143C24
	v_readlane_b32 s82, v3, 7                                  // 0000000097A4: D2890052 00010F03
	s_and_b32 s82, s82, 0xffffff                               // 0000000097AC: 8652FF52 00FFFFFF
	s_cmp_lt_u32 s82, s66                                      // 0000000097B4: BF0A4252
	s_cselect_b32 s21, s36, s60                                // 0000000097B8: 85153C24
	s_mov_b64 exec, s[20:21]                                   // 0000000097BC: BEFE0114
	global_atomic_add_f32 v6, v143, s[8:9] offset:8            // 0000000097C0: DD348008 00088F06
	global_atomic_add_f32 v6, v147, s[8:9] offset:264          // 0000000097C8: DD348108 00089306
	s_mov_b64 exec, s[36:37]                                   // 0000000097D0: BEFE0124
	v_mov_b32_e32 v6, v62                                      // 0000000097D4: 7E0C033E
	s_mov_b64 s[60:61], 0                                      // 0000000097D8: BEBC0180
	v_readlane_b32 s82, v3, 8                                  // 0000000097DC: D2890052 00011103
	s_and_b32 s82, s82, 0xffffff                               // 0000000097E4: 8652FF52 00FFFFFF
	s_cmp_lt_u32 s82, s66                                      // 0000000097EC: BF0A4252
	s_cselect_b32 s20, s36, s60                                // 0000000097F0: 85143C24
	v_readlane_b32 s82, v3, 9                                  // 0000000097F4: D2890052 00011303
	s_and_b32 s82, s82, 0xffffff                               // 0000000097FC: 8652FF52 00FFFFFF
	s_cmp_lt_u32 s82, s66                                      // 000000009804: BF0A4252
	s_cselect_b32 s21, s36, s60                                // 000000009808: 85153C24
	s_mov_b64 exec, s[20:21]                                   // 00000000980C: BEFE0114
	global_atomic_add_f32 v6, v150, s[8:9] offset:8            // 000000009810: DD348008 00089606
	global_atomic_add_f32 v6, v154, s[8:9] offset:264          // 000000009818: DD348108 00089A06
	s_mov_b64 exec, s[36:37]                                   // 000000009820: BEFE0124
	v_mov_b32_e32 v6, v63                                      // 000000009824: 7E0C033F
	s_mov_b64 s[60:61], 0                                      // 000000009828: BEBC0180
	v_readlane_b32 s82, v3, 10                                 // 00000000982C: D2890052 00011503
	s_and_b32 s82, s82, 0xffffff                               // 000000009834: 8652FF52 00FFFFFF
	s_cmp_lt_u32 s82, s66                                      // 00000000983C: BF0A4252
	s_cselect_b32 s20, s36, s60                                // 000000009840: 85143C24
	v_readlane_b32 s82, v3, 11                                 // 000000009844: D2890052 00011703
	s_and_b32 s82, s82, 0xffffff                               // 00000000984C: 8652FF52 00FFFFFF
	s_cmp_lt_u32 s82, s66                                      // 000000009854: BF0A4252
	s_cselect_b32 s21, s36, s60                                // 000000009858: 85153C24
	s_mov_b64 exec, s[20:21]                                   // 00000000985C: BEFE0114
	global_atomic_add_f32 v6, v151, s[8:9] offset:8            // 000000009860: DD348008 00089706
	global_atomic_add_f32 v6, v155, s[8:9] offset:264          // 000000009868: DD348108 00089B06
	s_mov_b64 exec, s[36:37]                                   // 000000009870: BEFE0124
	v_mov_b32_e32 v6, v64                                      // 000000009874: 7E0C0340
	s_mov_b64 s[60:61], 0                                      // 000000009878: BEBC0180
	v_readlane_b32 s82, v3, 12                                 // 00000000987C: D2890052 00011903
	s_and_b32 s82, s82, 0xffffff                               // 000000009884: 8652FF52 00FFFFFF
	s_cmp_lt_u32 s82, s66                                      // 00000000988C: BF0A4252
	s_cselect_b32 s20, s36, s60                                // 000000009890: 85143C24
	v_readlane_b32 s82, v3, 13                                 // 000000009894: D2890052 00011B03
	s_and_b32 s82, s82, 0xffffff                               // 00000000989C: 8652FF52 00FFFFFF
	s_cmp_lt_u32 s82, s66                                      // 0000000098A4: BF0A4252
	s_cselect_b32 s21, s36, s60                                // 0000000098A8: 85153C24
	s_mov_b64 exec, s[20:21]                                   // 0000000098AC: BEFE0114
	global_atomic_add_f32 v6, v158, s[8:9] offset:8            // 0000000098B0: DD348008 00089E06
	global_atomic_add_f32 v6, v162, s[8:9] offset:264          // 0000000098B8: DD348108 0008A206
	s_mov_b64 exec, s[36:37]                                   // 0000000098C0: BEFE0124
	v_mov_b32_e32 v6, v65                                      // 0000000098C4: 7E0C0341
	s_mov_b64 s[60:61], 0                                      // 0000000098C8: BEBC0180
	v_readlane_b32 s82, v3, 14                                 // 0000000098CC: D2890052 00011D03
	s_and_b32 s82, s82, 0xffffff                               // 0000000098D4: 8652FF52 00FFFFFF
	s_cmp_lt_u32 s82, s66                                      // 0000000098DC: BF0A4252
	s_cselect_b32 s20, s36, s60                                // 0000000098E0: 85143C24
	v_readlane_b32 s82, v3, 15                                 // 0000000098E4: D2890052 00011F03
	s_and_b32 s82, s82, 0xffffff                               // 0000000098EC: 8652FF52 00FFFFFF
	s_cmp_lt_u32 s82, s66                                      // 0000000098F4: BF0A4252
	s_cselect_b32 s21, s36, s60                                // 0000000098F8: 85153C24
	s_mov_b64 exec, s[20:21]                                   // 0000000098FC: BEFE0114
	global_atomic_add_f32 v6, v159, s[8:9] offset:8            // 000000009900: DD348008 00089F06
	global_atomic_add_f32 v6, v163, s[8:9] offset:264          // 000000009908: DD348108 0008A306
	s_mov_b64 exec, s[36:37]                                   // 000000009910: BEFE0124
	v_mov_b32_e32 v6, v66                                      // 000000009914: 7E0C0342
	s_mov_b64 s[60:61], 0                                      // 000000009918: BEBC0180
	v_readlane_b32 s82, v3, 16                                 // 00000000991C: D2890052 00012103
	s_and_b32 s82, s82, 0xffffff                               // 000000009924: 8652FF52 00FFFFFF
	s_cmp_lt_u32 s82, s66                                      // 00000000992C: BF0A4252
	s_cselect_b32 s20, s36, s60                                // 000000009930: 85143C24
	v_readlane_b32 s82, v3, 17                                 // 000000009934: D2890052 00012303
	s_and_b32 s82, s82, 0xffffff                               // 00000000993C: 8652FF52 00FFFFFF
	s_cmp_lt_u32 s82, s66                                      // 000000009944: BF0A4252
	s_cselect_b32 s21, s36, s60                                // 000000009948: 85153C24
	s_mov_b64 exec, s[20:21]                                   // 00000000994C: BEFE0114
	global_atomic_add_f32 v6, v166, s[8:9] offset:8            // 000000009950: DD348008 0008A606
	global_atomic_add_f32 v6, v170, s[8:9] offset:264          // 000000009958: DD348108 0008AA06
	s_mov_b64 exec, s[36:37]                                   // 000000009960: BEFE0124
	v_mov_b32_e32 v6, v67                                      // 000000009964: 7E0C0343
	s_mov_b64 s[60:61], 0                                      // 000000009968: BEBC0180
	v_readlane_b32 s82, v3, 18                                 // 00000000996C: D2890052 00012503
	s_and_b32 s82, s82, 0xffffff                               // 000000009974: 8652FF52 00FFFFFF
	s_cmp_lt_u32 s82, s66                                      // 00000000997C: BF0A4252
	s_cselect_b32 s20, s36, s60                                // 000000009980: 85143C24
	v_readlane_b32 s82, v3, 19                                 // 000000009984: D2890052 00012703
	s_and_b32 s82, s82, 0xffffff                               // 00000000998C: 8652FF52 00FFFFFF
	s_cmp_lt_u32 s82, s66                                      // 000000009994: BF0A4252
	s_cselect_b32 s21, s36, s60                                // 000000009998: 85153C24
	s_mov_b64 exec, s[20:21]                                   // 00000000999C: BEFE0114
	global_atomic_add_f32 v6, v167, s[8:9] offset:8            // 0000000099A0: DD348008 0008A706
	global_atomic_add_f32 v6, v171, s[8:9] offset:264          // 0000000099A8: DD348108 0008AB06
	s_mov_b64 exec, s[36:37]                                   // 0000000099B0: BEFE0124
	v_mov_b32_e32 v6, v68                                      // 0000000099B4: 7E0C0344
	s_mov_b64 s[60:61], 0                                      // 0000000099B8: BEBC0180
	v_readlane_b32 s82, v3, 20                                 // 0000000099BC: D2890052 00012903
	s_and_b32 s82, s82, 0xffffff                               // 0000000099C4: 8652FF52 00FFFFFF
	s_cmp_lt_u32 s82, s66                                      // 0000000099CC: BF0A4252
	s_cselect_b32 s20, s36, s60                                // 0000000099D0: 85143C24
	v_readlane_b32 s82, v3, 21                                 // 0000000099D4: D2890052 00012B03
	s_and_b32 s82, s82, 0xffffff                               // 0000000099DC: 8652FF52 00FFFFFF
	s_cmp_lt_u32 s82, s66                                      // 0000000099E4: BF0A4252
	s_cselect_b32 s21, s36, s60                                // 0000000099E8: 85153C24
	s_mov_b64 exec, s[20:21]                                   // 0000000099EC: BEFE0114
	global_atomic_add_f32 v6, v174, s[8:9] offset:8            // 0000000099F0: DD348008 0008AE06
	global_atomic_add_f32 v6, v178, s[8:9] offset:264          // 0000000099F8: DD348108 0008B206
	s_mov_b64 exec, s[36:37]                                   // 000000009A00: BEFE0124
	v_mov_b32_e32 v6, v69                                      // 000000009A04: 7E0C0345
	s_mov_b64 s[60:61], 0                                      // 000000009A08: BEBC0180
	v_readlane_b32 s82, v3, 22                                 // 000000009A0C: D2890052 00012D03
	s_and_b32 s82, s82, 0xffffff                               // 000000009A14: 8652FF52 00FFFFFF
	s_cmp_lt_u32 s82, s66                                      // 000000009A1C: BF0A4252
	s_cselect_b32 s20, s36, s60                                // 000000009A20: 85143C24
	v_readlane_b32 s82, v3, 23                                 // 000000009A24: D2890052 00012F03
	s_and_b32 s82, s82, 0xffffff                               // 000000009A2C: 8652FF52 00FFFFFF
	s_cmp_lt_u32 s82, s66                                      // 000000009A34: BF0A4252
	s_cselect_b32 s21, s36, s60                                // 000000009A38: 85153C24
	s_mov_b64 exec, s[20:21]                                   // 000000009A3C: BEFE0114
	global_atomic_add_f32 v6, v175, s[8:9] offset:8            // 000000009A40: DD348008 0008AF06
	global_atomic_add_f32 v6, v179, s[8:9] offset:264          // 000000009A48: DD348108 0008B306
	s_mov_b64 exec, s[36:37]                                   // 000000009A50: BEFE0124
	v_mov_b32_e32 v6, v70                                      // 000000009A54: 7E0C0346
	s_mov_b64 s[60:61], 0                                      // 000000009A58: BEBC0180
	v_readlane_b32 s82, v3, 24                                 // 000000009A5C: D2890052 00013103
	s_and_b32 s82, s82, 0xffffff                               // 000000009A64: 8652FF52 00FFFFFF
	s_cmp_lt_u32 s82, s66                                      // 000000009A6C: BF0A4252
	s_cselect_b32 s20, s36, s60                                // 000000009A70: 85143C24
	v_readlane_b32 s82, v3, 25                                 // 000000009A74: D2890052 00013303
	s_and_b32 s82, s82, 0xffffff                               // 000000009A7C: 8652FF52 00FFFFFF
	s_cmp_lt_u32 s82, s66                                      // 000000009A84: BF0A4252
	s_cselect_b32 s21, s36, s60                                // 000000009A88: 85153C24
	s_mov_b64 exec, s[20:21]                                   // 000000009A8C: BEFE0114
	global_atomic_add_f32 v6, v182, s[8:9] offset:8            // 000000009A90: DD348008 0008B606
	global_atomic_add_f32 v6, v186, s[8:9] offset:264          // 000000009A98: DD348108 0008BA06
	s_mov_b64 exec, s[36:37]                                   // 000000009AA0: BEFE0124
	v_mov_b32_e32 v6, v71                                      // 000000009AA4: 7E0C0347
	s_mov_b64 s[60:61], 0                                      // 000000009AA8: BEBC0180
	v_readlane_b32 s82, v3, 26                                 // 000000009AAC: D2890052 00013503
	s_and_b32 s82, s82, 0xffffff                               // 000000009AB4: 8652FF52 00FFFFFF
	s_cmp_lt_u32 s82, s66                                      // 000000009ABC: BF0A4252
	s_cselect_b32 s20, s36, s60                                // 000000009AC0: 85143C24
	v_readlane_b32 s82, v3, 27                                 // 000000009AC4: D2890052 00013703
	s_and_b32 s82, s82, 0xffffff                               // 000000009ACC: 8652FF52 00FFFFFF
	s_cmp_lt_u32 s82, s66                                      // 000000009AD4: BF0A4252
	s_cselect_b32 s21, s36, s60                                // 000000009AD8: 85153C24
	s_mov_b64 exec, s[20:21]                                   // 000000009ADC: BEFE0114
	global_atomic_add_f32 v6, v183, s[8:9] offset:8            // 000000009AE0: DD348008 0008B706
	global_atomic_add_f32 v6, v187, s[8:9] offset:264          // 000000009AE8: DD348108 0008BB06
	s_mov_b64 exec, s[36:37]                                   // 000000009AF0: BEFE0124
	s_branch label_3512                                        // 000000009AF4: BF8218D1

0000000000009af8 <label_1C41>:
	s_waitcnt vmcnt(18) lgkmcnt(0)                             // 000000009AF8: BF8C4072
	v_mfma_f32_16x16x32_fp8_fp8 v[76:79], a[112:113], a[0:1], v[76:79]// 000000009AFC: D3F3004C 1D320170
	buffer_load_dwordx4 a[144:147], v72, s[24:27], 0 offen     // 000000009B04: E05C1000 80869048
	v_mfma_f32_16x16x32_fp8_fp8 v[76:79], a[114:115], a[2:3], v[76:79]// 000000009B0C: D3F3004C 1D320572
	v_mfma_f32_16x16x32_fp8_fp8 v[76:79], a[116:117], a[4:5], v[76:79]// 000000009B14: D3F3004C 1D320974
	v_mfma_f32_16x16x32_fp8_fp8 v[76:79], a[118:119], a[6:7], v[76:79]// 000000009B1C: D3F3004C 1D320D76
	v_mfma_f32_16x16x32_fp8_fp8 v[104:107], a[120:121], a[0:1], v[104:107]// 000000009B24: D3F30068 1DA20178
	buffer_load_dwordx4 a[148:151], v72, s[24:27], 0 offen offset:1024// 000000009B2C: E05C1400 80869448
	v_mfma_f32_16x16x32_fp8_fp8 v[104:107], a[122:123], a[2:3], v[104:107]// 000000009B34: D3F30068 1DA2057A
	v_mfma_f32_16x16x32_fp8_fp8 v[104:107], a[124:125], a[4:5], v[104:107]// 000000009B3C: D3F30068 1DA2097C
	v_mfma_f32_16x16x32_fp8_fp8 v[104:107], a[126:127], a[6:7], v[104:107]// 000000009B44: D3F30068 1DA20D7E
	v_mfma_f32_16x16x32_fp8_fp8 v[80:83], a[112:113], a[8:9], v[80:83]// 000000009B4C: D3F30050 1D421170
	buffer_load_dwordx4 a[152:155], v73, s[24:27], 0 offen     // 000000009B54: E05C1000 80869849
	v_mfma_f32_16x16x32_fp8_fp8 v[80:83], a[114:115], a[10:11], v[80:83]// 000000009B5C: D3F30050 1D421572
	v_mfma_f32_16x16x32_fp8_fp8 v[80:83], a[116:117], a[12:13], v[80:83]// 000000009B64: D3F30050 1D421974
	v_mfma_f32_16x16x32_fp8_fp8 v[80:83], a[118:119], a[14:15], v[80:83]// 000000009B6C: D3F30050 1D421D76
	v_mfma_f32_16x16x32_fp8_fp8 v[108:111], a[120:121], a[8:9], v[108:111]// 000000009B74: D3F3006C 1DB21178
	buffer_load_dwordx4 a[156:159], v73, s[24:27], 0 offen offset:1024// 000000009B7C: E05C1400 80869C49
	buffer_load_dword v58, s[20:23], 0 offen lds               // 000000009B84: E0511000 8005003A
	s_add_u32 m0, 0x100, s50                                   // 000000009B8C: 807C32FF 00000100
	v_mfma_f32_16x16x32_fp8_fp8 v[108:111], a[122:123], a[10:11], v[108:111]// 000000009B94: D3F3006C 1DB2157A
	v_mfma_f32_16x16x32_fp8_fp8 v[108:111], a[124:125], a[12:13], v[108:111]// 000000009B9C: D3F3006C 1DB2197C
	buffer_load_dword v59, s[20:23], 0 offen lds               // 000000009BA4: E0511000 8005003B
	s_add_u32 m0, 0x200, s50                                   // 000000009BAC: 807C32FF 00000200
	v_mfma_f32_16x16x32_fp8_fp8 v[108:111], a[126:127], a[14:15], v[108:111]// 000000009BB4: D3F3006C 1DB21D7E
	v_mfma_f32_16x16x32_fp8_fp8 v[84:87], a[112:113], a[16:17], v[84:87]// 000000009BBC: D3F30054 1D522170
	buffer_load_dword v60, s[20:23], 0 offen lds               // 000000009BC4: E0511000 8005003C
	s_add_u32 m0, 0x300, s50                                   // 000000009BCC: 807C32FF 00000300
	v_mfma_f32_16x16x32_fp8_fp8 v[84:87], a[114:115], a[18:19], v[84:87]// 000000009BD4: D3F30054 1D522572
	v_mfma_f32_16x16x32_fp8_fp8 v[84:87], a[116:117], a[20:21], v[84:87]// 000000009BDC: D3F30054 1D522974
	buffer_load_dword v61, s[20:23], 0 offen lds               // 000000009BE4: E0511000 8005003D
	s_add_u32 m0, 0x400, s50                                   // 000000009BEC: 807C32FF 00000400
	v_mfma_f32_16x16x32_fp8_fp8 v[84:87], a[118:119], a[22:23], v[84:87]// 000000009BF4: D3F30054 1D522D76
	v_mfma_f32_16x16x32_fp8_fp8 v[112:115], a[120:121], a[16:17], v[112:115]// 000000009BFC: D3F30070 1DC22178
	buffer_load_dword v62, s[20:23], 0 offen lds               // 000000009C04: E0511000 8005003E
	s_add_u32 m0, 0x500, s50                                   // 000000009C0C: 807C32FF 00000500
	v_mfma_f32_16x16x32_fp8_fp8 v[112:115], a[122:123], a[18:19], v[112:115]// 000000009C14: D3F30070 1DC2257A
	v_mfma_f32_16x16x32_fp8_fp8 v[112:115], a[124:125], a[20:21], v[112:115]// 000000009C1C: D3F30070 1DC2297C
	buffer_load_dword v63, s[20:23], 0 offen lds               // 000000009C24: E0511000 8005003F
	s_add_u32 m0, 0x600, s50                                   // 000000009C2C: 807C32FF 00000600
	v_mfma_f32_16x16x32_fp8_fp8 v[112:115], a[126:127], a[22:23], v[112:115]// 000000009C34: D3F30070 1DC22D7E
	v_mfma_f32_16x16x32_fp8_fp8 v[88:91], a[112:113], a[24:25], v[88:91]// 000000009C3C: D3F30058 1D623170
	buffer_load_dword v64, s[20:23], 0 offen lds               // 000000009C44: E0511000 80050040
	s_add_u32 m0, 0x700, s50                                   // 000000009C4C: 807C32FF 00000700
	v_mfma_f32_16x16x32_fp8_fp8 v[88:91], a[114:115], a[26:27], v[88:91]// 000000009C54: D3F30058 1D623572
	v_mfma_f32_16x16x32_fp8_fp8 v[88:91], a[116:117], a[28:29], v[88:91]// 000000009C5C: D3F30058 1D623974
	buffer_load_dword v65, s[20:23], 0 offen lds               // 000000009C64: E0511000 80050041
	s_add_u32 m0, 0x800, s50                                   // 000000009C6C: 807C32FF 00000800
	v_mfma_f32_16x16x32_fp8_fp8 v[88:91], a[118:119], a[30:31], v[88:91]// 000000009C74: D3F30058 1D623D76
	v_mfma_f32_16x16x32_fp8_fp8 v[116:119], a[120:121], a[24:25], v[116:119]// 000000009C7C: D3F30074 1DD23178
	buffer_load_dword v66, s[20:23], 0 offen lds               // 000000009C84: E0511000 80050042
	s_add_u32 m0, 0x900, s50                                   // 000000009C8C: 807C32FF 00000900
	v_mfma_f32_16x16x32_fp8_fp8 v[116:119], a[122:123], a[26:27], v[116:119]// 000000009C94: D3F30074 1DD2357A
	v_mfma_f32_16x16x32_fp8_fp8 v[116:119], a[124:125], a[28:29], v[116:119]// 000000009C9C: D3F30074 1DD2397C
	buffer_load_dword v67, s[20:23], 0 offen lds               // 000000009CA4: E0511000 80050043
	s_add_u32 m0, 0xa00, s50                                   // 000000009CAC: 807C32FF 00000A00
	v_mfma_f32_16x16x32_fp8_fp8 v[116:119], a[126:127], a[30:31], v[116:119]// 000000009CB4: D3F30074 1DD23D7E
	v_mfma_f32_16x16x32_fp8_fp8 v[92:95], a[112:113], a[32:33], v[92:95]// 000000009CBC: D3F3005C 1D724170
	buffer_load_dword v68, s[20:23], 0 offen lds               // 000000009CC4: E0511000 80050044
	s_add_u32 m0, 0xb00, s50                                   // 000000009CCC: 807C32FF 00000B00
	v_mfma_f32_16x16x32_fp8_fp8 v[92:95], a[114:115], a[34:35], v[92:95]// 000000009CD4: D3F3005C 1D724572
	v_mfma_f32_16x16x32_fp8_fp8 v[92:95], a[116:117], a[36:37], v[92:95]// 000000009CDC: D3F3005C 1D724974
	buffer_load_dword v69, s[20:23], 0 offen lds               // 000000009CE4: E0511000 80050045
	s_add_u32 m0, 0xc00, s50                                   // 000000009CEC: 807C32FF 00000C00
	v_mfma_f32_16x16x32_fp8_fp8 v[92:95], a[118:119], a[38:39], v[92:95]// 000000009CF4: D3F3005C 1D724D76
	v_mfma_f32_16x16x32_fp8_fp8 v[120:123], a[120:121], a[32:33], v[120:123]// 000000009CFC: D3F30078 1DE24178
	buffer_load_dword v70, s[20:23], 0 offen lds               // 000000009D04: E0511000 80050046
	s_add_u32 m0, 0xd00, s50                                   // 000000009D0C: 807C32FF 00000D00
	v_mfma_f32_16x16x32_fp8_fp8 v[120:123], a[122:123], a[34:35], v[120:123]// 000000009D14: D3F30078 1DE2457A
	v_mfma_f32_16x16x32_fp8_fp8 v[120:123], a[124:125], a[36:37], v[120:123]// 000000009D1C: D3F30078 1DE2497C
	buffer_load_dword v71, s[20:23], 0 offen lds               // 000000009D24: E0511000 80050047
	s_add_u32 m0, 0, s48                                       // 000000009D2C: 807C3080
	v_mfma_f32_16x16x32_fp8_fp8 v[120:123], a[126:127], a[38:39], v[120:123]// 000000009D30: D3F30078 1DE24D7E
	v_mfma_f32_16x16x32_fp8_fp8 v[96:99], a[112:113], a[40:41], v[96:99]// 000000009D38: D3F30060 1D825170
	v_mfma_f32_16x16x32_fp8_fp8 v[96:99], a[114:115], a[42:43], v[96:99]// 000000009D40: D3F30060 1D825572
	v_mfma_f32_16x16x32_fp8_fp8 v[96:99], a[116:117], a[44:45], v[96:99]// 000000009D48: D3F30060 1D825974
	v_mfma_f32_16x16x32_fp8_fp8 v[96:99], a[118:119], a[46:47], v[96:99]// 000000009D50: D3F30060 1D825D76
	v_mfma_f32_16x16x32_fp8_fp8 v[124:127], a[120:121], a[40:41], v[124:127]// 000000009D58: D3F3007C 1DF25178
	v_mfma_f32_16x16x32_fp8_fp8 v[124:127], a[122:123], a[42:43], v[124:127]// 000000009D60: D3F3007C 1DF2557A
	v_mfma_f32_16x16x32_fp8_fp8 v[124:127], a[124:125], a[44:45], v[124:127]// 000000009D68: D3F3007C 1DF2597C
	v_mfma_f32_16x16x32_fp8_fp8 v[124:127], a[126:127], a[46:47], v[124:127]// 000000009D70: D3F3007C 1DF25D7E
	v_mfma_f32_16x16x32_fp8_fp8 v[100:103], a[112:113], a[48:49], v[100:103]// 000000009D78: D3F30064 1D926170
	v_mfma_f32_16x16x32_fp8_fp8 v[100:103], a[114:115], a[50:51], v[100:103]// 000000009D80: D3F30064 1D926572
	v_mfma_f32_16x16x32_fp8_fp8 v[100:103], a[116:117], a[52:53], v[100:103]// 000000009D88: D3F30064 1D926974
	v_mfma_f32_16x16x32_fp8_fp8 v[100:103], a[118:119], a[54:55], v[100:103]// 000000009D90: D3F30064 1D926D76
	v_mfma_f32_16x16x32_fp8_fp8 v[128:131], a[120:121], a[48:49], v[128:131]// 000000009D98: D3F30080 1E026178
	v_mfma_f32_16x16x32_fp8_fp8 v[128:131], a[122:123], a[50:51], v[128:131]// 000000009DA0: D3F30080 1E02657A
	v_mfma_f32_16x16x32_fp8_fp8 v[128:131], a[124:125], a[52:53], v[128:131]// 000000009DA8: D3F30080 1E02697C
	v_mfma_f32_16x16x32_fp8_fp8 v[128:131], a[126:127], a[54:55], v[128:131]// 000000009DB0: D3F30080 1E026D7E
	s_waitcnt vmcnt(18)                                        // 000000009DB8: BF8C4F72
	s_barrier                                                  // 000000009DBC: BF8A0000
	v_mfma_f32_16x16x32_fp8_fp8 v[132:135], a[128:129], a[0:1], v[132:135]// 000000009DC0: D3F30084 1E120180
	buffer_load_dwordx4 a[112:115], v72, s[84:87], 0 offen     // 000000009DC8: E05C1000 80957048
	v_mfma_f32_16x16x32_fp8_fp8 v[132:135], a[130:131], a[2:3], v[132:135]// 000000009DD0: D3F30084 1E120582
	v_mfma_f32_16x16x32_fp8_fp8 v[132:135], a[132:133], a[4:5], v[132:135]// 000000009DD8: D3F30084 1E120984
	ds_read_b128 a[56:59], v2 offset:14464                     // 000000009DE0: DBFE3880 38000002
	ds_read_b128 a[60:63], v2 offset:14528                     // 000000009DE8: DBFE38C0 3C000002
	v_mfma_f32_16x16x32_fp8_fp8 v[132:135], a[134:135], a[6:7], v[132:135]// 000000009DF0: D3F30084 1E120D86
	v_mfma_f32_16x16x32_fp8_fp8 v[160:163], a[136:137], a[0:1], v[160:163]// 000000009DF8: D3F300A0 1E820188
	buffer_load_dwordx4 a[116:119], v72, s[84:87], 0 offen offset:1024// 000000009E00: E05C1400 80957448
	v_mfma_f32_16x16x32_fp8_fp8 v[160:163], a[138:139], a[2:3], v[160:163]// 000000009E08: D3F300A0 1E82058A
	v_mfma_f32_16x16x32_fp8_fp8 v[160:163], a[140:141], a[4:5], v[160:163]// 000000009E10: D3F300A0 1E82098C
	ds_read_b128 a[64:67], v2 offset:14976                     // 000000009E18: DBFE3A80 40000002
	ds_read_b128 a[68:71], v2 offset:15040                     // 000000009E20: DBFE3AC0 44000002
	v_mfma_f32_16x16x32_fp8_fp8 v[160:163], a[142:143], a[6:7], v[160:163]// 000000009E28: D3F300A0 1E820D8E
	v_mfma_f32_16x16x32_fp8_fp8 v[136:139], a[128:129], a[8:9], v[136:139]// 000000009E30: D3F30088 1E221180
	buffer_load_dwordx4 a[120:123], v73, s[84:87], 0 offen     // 000000009E38: E05C1000 80957849
	v_mfma_f32_16x16x32_fp8_fp8 v[136:139], a[130:131], a[10:11], v[136:139]// 000000009E40: D3F30088 1E221582
	v_mfma_f32_16x16x32_fp8_fp8 v[136:139], a[132:133], a[12:13], v[136:139]// 000000009E48: D3F30088 1E221984
	ds_read_b128 a[72:75], v2 offset:15488                     // 000000009E50: DBFE3C80 48000002
	ds_read_b128 a[76:79], v2 offset:15552                     // 000000009E58: DBFE3CC0 4C000002
	v_mfma_f32_16x16x32_fp8_fp8 v[136:139], a[134:135], a[14:15], v[136:139]// 000000009E60: D3F30088 1E221D86
	v_mfma_f32_16x16x32_fp8_fp8 v[164:167], a[136:137], a[8:9], v[164:167]// 000000009E68: D3F300A4 1E921188
	buffer_load_dwordx4 a[124:127], v73, s[84:87], 0 offen offset:1024// 000000009E70: E05C1400 80957C49
	v_mfma_f32_16x16x32_fp8_fp8 v[164:167], a[138:139], a[10:11], v[164:167]// 000000009E78: D3F300A4 1E92158A
	v_mfma_f32_16x16x32_fp8_fp8 v[164:167], a[140:141], a[12:13], v[164:167]// 000000009E80: D3F300A4 1E92198C
	ds_read_b128 a[80:83], v2 offset:16000                     // 000000009E88: DBFE3E80 50000002
	ds_read_b128 a[84:87], v2 offset:16064                     // 000000009E90: DBFE3EC0 54000002
	v_mfma_f32_16x16x32_fp8_fp8 v[164:167], a[142:143], a[14:15], v[164:167]// 000000009E98: D3F300A4 1E921D8E
	v_mfma_f32_16x16x32_fp8_fp8 v[140:143], a[128:129], a[16:17], v[140:143]// 000000009EA0: D3F3008C 1E322180
	v_mfma_f32_16x16x32_fp8_fp8 v[140:143], a[130:131], a[18:19], v[140:143]// 000000009EA8: D3F3008C 1E322582
	v_mfma_f32_16x16x32_fp8_fp8 v[140:143], a[132:133], a[20:21], v[140:143]// 000000009EB0: D3F3008C 1E322984
	ds_read_b128 a[88:91], v2 offset:16512                     // 000000009EB8: DBFE4080 58000002
	ds_read_b128 a[92:95], v2 offset:16576                     // 000000009EC0: DBFE40C0 5C000002
	v_mfma_f32_16x16x32_fp8_fp8 v[140:143], a[134:135], a[22:23], v[140:143]// 000000009EC8: D3F3008C 1E322D86
	v_mfma_f32_16x16x32_fp8_fp8 v[168:171], a[136:137], a[16:17], v[168:171]// 000000009ED0: D3F300A8 1EA22188
	v_mfma_f32_16x16x32_fp8_fp8 v[168:171], a[138:139], a[18:19], v[168:171]// 000000009ED8: D3F300A8 1EA2258A
	v_mfma_f32_16x16x32_fp8_fp8 v[168:171], a[140:141], a[20:21], v[168:171]// 000000009EE0: D3F300A8 1EA2298C
	ds_read_b128 a[96:99], v2 offset:17024                     // 000000009EE8: DBFE4280 60000002
	ds_read_b128 a[100:103], v2 offset:17088                   // 000000009EF0: DBFE42C0 64000002
	v_mfma_f32_16x16x32_fp8_fp8 v[168:171], a[142:143], a[22:23], v[168:171]// 000000009EF8: D3F300A8 1EA22D8E
	v_mfma_f32_16x16x32_fp8_fp8 v[144:147], a[128:129], a[24:25], v[144:147]// 000000009F00: D3F30090 1E423180
	v_mfma_f32_16x16x32_fp8_fp8 v[144:147], a[130:131], a[26:27], v[144:147]// 000000009F08: D3F30090 1E423582
	v_mfma_f32_16x16x32_fp8_fp8 v[144:147], a[132:133], a[28:29], v[144:147]// 000000009F10: D3F30090 1E423984
	ds_read_b128 a[104:107], v2 offset:17536                   // 000000009F18: DBFE4480 68000002
	ds_read_b128 a[108:111], v2 offset:17600                   // 000000009F20: DBFE44C0 6C000002
	v_mfma_f32_16x16x32_fp8_fp8 v[144:147], a[134:135], a[30:31], v[144:147]// 000000009F28: D3F30090 1E423D86
	v_mfma_f32_16x16x32_fp8_fp8 v[172:175], a[136:137], a[24:25], v[172:175]// 000000009F30: D3F300AC 1EB23188
	v_mfma_f32_16x16x32_fp8_fp8 v[172:175], a[138:139], a[26:27], v[172:175]// 000000009F38: D3F300AC 1EB2358A
	v_mfma_f32_16x16x32_fp8_fp8 v[172:175], a[140:141], a[28:29], v[172:175]// 000000009F40: D3F300AC 1EB2398C
	v_mfma_f32_16x16x32_fp8_fp8 v[172:175], a[142:143], a[30:31], v[172:175]// 000000009F48: D3F300AC 1EB23D8E
	v_mfma_f32_16x16x32_fp8_fp8 v[148:151], a[128:129], a[32:33], v[148:151]// 000000009F50: D3F30094 1E524180
	v_mfma_f32_16x16x32_fp8_fp8 v[148:151], a[130:131], a[34:35], v[148:151]// 000000009F58: D3F30094 1E524582
	v_mfma_f32_16x16x32_fp8_fp8 v[148:151], a[132:133], a[36:37], v[148:151]// 000000009F60: D3F30094 1E524984
	v_mfma_f32_16x16x32_fp8_fp8 v[148:151], a[134:135], a[38:39], v[148:151]// 000000009F68: D3F30094 1E524D86
	v_mfma_f32_16x16x32_fp8_fp8 v[176:179], a[136:137], a[32:33], v[176:179]// 000000009F70: D3F300B0 1EC24188
	v_mfma_f32_16x16x32_fp8_fp8 v[176:179], a[138:139], a[34:35], v[176:179]// 000000009F78: D3F300B0 1EC2458A
	v_mfma_f32_16x16x32_fp8_fp8 v[176:179], a[140:141], a[36:37], v[176:179]// 000000009F80: D3F300B0 1EC2498C
	v_mfma_f32_16x16x32_fp8_fp8 v[176:179], a[142:143], a[38:39], v[176:179]// 000000009F88: D3F300B0 1EC24D8E
	v_mfma_f32_16x16x32_fp8_fp8 v[152:155], a[128:129], a[40:41], v[152:155]// 000000009F90: D3F30098 1E625180
	v_mfma_f32_16x16x32_fp8_fp8 v[152:155], a[130:131], a[42:43], v[152:155]// 000000009F98: D3F30098 1E625582
	v_mfma_f32_16x16x32_fp8_fp8 v[152:155], a[132:133], a[44:45], v[152:155]// 000000009FA0: D3F30098 1E625984
	v_mfma_f32_16x16x32_fp8_fp8 v[152:155], a[134:135], a[46:47], v[152:155]// 000000009FA8: D3F30098 1E625D86
	v_mfma_f32_16x16x32_fp8_fp8 v[180:183], a[136:137], a[40:41], v[180:183]// 000000009FB0: D3F300B4 1ED25188
	v_mfma_f32_16x16x32_fp8_fp8 v[180:183], a[138:139], a[42:43], v[180:183]// 000000009FB8: D3F300B4 1ED2558A
	v_mfma_f32_16x16x32_fp8_fp8 v[180:183], a[140:141], a[44:45], v[180:183]// 000000009FC0: D3F300B4 1ED2598C
	v_mfma_f32_16x16x32_fp8_fp8 v[180:183], a[142:143], a[46:47], v[180:183]// 000000009FC8: D3F300B4 1ED25D8E
	v_mfma_f32_16x16x32_fp8_fp8 v[156:159], a[128:129], a[48:49], v[156:159]// 000000009FD0: D3F3009C 1E726180
	s_add_u32 s60, 0x180, s80                                  // 000000009FD8: 803C50FF 00000180
	s_cmp_lt_u32 s60, s81                                      // 000000009FE0: BF0A513C
	s_cselect_b32 s57, s57, 0                                  // 000000009FE4: 85398039
	v_mfma_f32_16x16x32_fp8_fp8 v[156:159], a[130:131], a[50:51], v[156:159]// 000000009FE8: D3F3009C 1E726582
	s_add_u32 s60, 0x100, s80                                  // 000000009FF0: 803C50FF 00000100
	s_cmp_lt_u32 s60, s81                                      // 000000009FF8: BF0A513C
	s_cselect_b32 s58, s58, 0                                  // 000000009FFC: 853A803A
	v_mfma_f32_16x16x32_fp8_fp8 v[156:159], a[132:133], a[52:53], v[156:159]// 00000000A000: D3F3009C 1E726984
	s_add_u32 s60, 0x100, s80                                  // 00000000A008: 803C50FF 00000100
	s_cmp_lt_u32 s60, s81                                      // 00000000A010: BF0A513C
	s_cselect_b32 s83, s83, 0                                  // 00000000A014: 85538053
	v_mfma_f32_16x16x32_fp8_fp8 v[156:159], a[134:135], a[54:55], v[156:159]// 00000000A018: D3F3009C 1E726D86
	s_add_u32 s24, s58, s24                                    // 00000000A020: 8018183A
	s_addc_u32 s25, 0, s25                                     // 00000000A024: 82191980
	v_mfma_f32_16x16x32_fp8_fp8 v[184:187], a[136:137], a[48:49], v[184:187]// 00000000A028: D3F300B8 1EE26188
	s_add_u32 s20, s57, s20                                    // 00000000A030: 80141439
	s_addc_u32 s21, 0, s21                                     // 00000000A034: 82151580
	v_mfma_f32_16x16x32_fp8_fp8 v[184:187], a[138:139], a[50:51], v[184:187]// 00000000A038: D3F300B8 1EE2658A
	s_add_u32 s84, s83, s84                                    // 00000000A040: 80545453
	s_addc_u32 s85, 0, s85                                     // 00000000A044: 82555580
	v_mfma_f32_16x16x32_fp8_fp8 v[184:187], a[140:141], a[52:53], v[184:187]// 00000000A048: D3F300B8 1EE2698C
	v_mfma_f32_16x16x32_fp8_fp8 v[184:187], a[142:143], a[54:55], v[184:187]// 00000000A050: D3F300B8 1EE26D8E
	s_addk_i32 s80, 0x80                                       // 00000000A058: B7500080
	s_cmp_lt_i32 s80, s81                                      // 00000000A05C: BF045150
	s_cbranch_scc0 label_2464                                  // 00000000A060: BF8406C8
	s_waitcnt vmcnt(18) lgkmcnt(0)                             // 00000000A064: BF8C4072
	v_mfma_f32_16x16x32_fp8_fp8 v[76:79], a[144:145], a[56:57], v[76:79]// 00000000A068: D3F3004C 1D327190
	buffer_load_dwordx4 a[128:131], v72, s[24:27], 0 offen     // 00000000A070: E05C1000 80868048
	v_mfma_f32_16x16x32_fp8_fp8 v[76:79], a[146:147], a[58:59], v[76:79]// 00000000A078: D3F3004C 1D327592
	v_mfma_f32_16x16x32_fp8_fp8 v[76:79], a[148:149], a[60:61], v[76:79]// 00000000A080: D3F3004C 1D327994
	v_mfma_f32_16x16x32_fp8_fp8 v[76:79], a[150:151], a[62:63], v[76:79]// 00000000A088: D3F3004C 1D327D96
	v_mfma_f32_16x16x32_fp8_fp8 v[104:107], a[152:153], a[56:57], v[104:107]// 00000000A090: D3F30068 1DA27198
	buffer_load_dwordx4 a[132:135], v72, s[24:27], 0 offen offset:1024// 00000000A098: E05C1400 80868448
	v_mfma_f32_16x16x32_fp8_fp8 v[104:107], a[154:155], a[58:59], v[104:107]// 00000000A0A0: D3F30068 1DA2759A
	v_mfma_f32_16x16x32_fp8_fp8 v[104:107], a[156:157], a[60:61], v[104:107]// 00000000A0A8: D3F30068 1DA2799C
	v_mfma_f32_16x16x32_fp8_fp8 v[104:107], a[158:159], a[62:63], v[104:107]// 00000000A0B0: D3F30068 1DA27D9E
	v_mfma_f32_16x16x32_fp8_fp8 v[80:83], a[144:145], a[64:65], v[80:83]// 00000000A0B8: D3F30050 1D428190
	buffer_load_dwordx4 a[136:139], v73, s[24:27], 0 offen     // 00000000A0C0: E05C1000 80868849
	v_mfma_f32_16x16x32_fp8_fp8 v[80:83], a[146:147], a[66:67], v[80:83]// 00000000A0C8: D3F30050 1D428592
	v_mfma_f32_16x16x32_fp8_fp8 v[80:83], a[148:149], a[68:69], v[80:83]// 00000000A0D0: D3F30050 1D428994
	v_mfma_f32_16x16x32_fp8_fp8 v[80:83], a[150:151], a[70:71], v[80:83]// 00000000A0D8: D3F30050 1D428D96
	v_mfma_f32_16x16x32_fp8_fp8 v[108:111], a[152:153], a[64:65], v[108:111]// 00000000A0E0: D3F3006C 1DB28198
	buffer_load_dwordx4 a[140:143], v73, s[24:27], 0 offen offset:1024// 00000000A0E8: E05C1400 80868C49
	buffer_load_dword v58, s[20:23], 0 offen lds               // 00000000A0F0: E0511000 8005003A
	s_add_u32 m0, 0x100, s48                                   // 00000000A0F8: 807C30FF 00000100
	v_mfma_f32_16x16x32_fp8_fp8 v[108:111], a[154:155], a[66:67], v[108:111]// 00000000A100: D3F3006C 1DB2859A
	v_mfma_f32_16x16x32_fp8_fp8 v[108:111], a[156:157], a[68:69], v[108:111]// 00000000A108: D3F3006C 1DB2899C
	buffer_load_dword v59, s[20:23], 0 offen lds               // 00000000A110: E0511000 8005003B
	s_add_u32 m0, 0x200, s48                                   // 00000000A118: 807C30FF 00000200
	v_mfma_f32_16x16x32_fp8_fp8 v[108:111], a[158:159], a[70:71], v[108:111]// 00000000A120: D3F3006C 1DB28D9E
	v_mfma_f32_16x16x32_fp8_fp8 v[84:87], a[144:145], a[72:73], v[84:87]// 00000000A128: D3F30054 1D529190
	buffer_load_dword v60, s[20:23], 0 offen lds               // 00000000A130: E0511000 8005003C
	s_add_u32 m0, 0x300, s48                                   // 00000000A138: 807C30FF 00000300
	v_mfma_f32_16x16x32_fp8_fp8 v[84:87], a[146:147], a[74:75], v[84:87]// 00000000A140: D3F30054 1D529592
	v_mfma_f32_16x16x32_fp8_fp8 v[84:87], a[148:149], a[76:77], v[84:87]// 00000000A148: D3F30054 1D529994
	buffer_load_dword v61, s[20:23], 0 offen lds               // 00000000A150: E0511000 8005003D
	s_add_u32 m0, 0x400, s48                                   // 00000000A158: 807C30FF 00000400
	v_mfma_f32_16x16x32_fp8_fp8 v[84:87], a[150:151], a[78:79], v[84:87]// 00000000A160: D3F30054 1D529D96
	v_mfma_f32_16x16x32_fp8_fp8 v[112:115], a[152:153], a[72:73], v[112:115]// 00000000A168: D3F30070 1DC29198
	buffer_load_dword v62, s[20:23], 0 offen lds               // 00000000A170: E0511000 8005003E
	s_add_u32 m0, 0x500, s48                                   // 00000000A178: 807C30FF 00000500
	v_mfma_f32_16x16x32_fp8_fp8 v[112:115], a[154:155], a[74:75], v[112:115]// 00000000A180: D3F30070 1DC2959A
	v_mfma_f32_16x16x32_fp8_fp8 v[112:115], a[156:157], a[76:77], v[112:115]// 00000000A188: D3F30070 1DC2999C
	buffer_load_dword v63, s[20:23], 0 offen lds               // 00000000A190: E0511000 8005003F
	s_add_u32 m0, 0x600, s48                                   // 00000000A198: 807C30FF 00000600
	v_mfma_f32_16x16x32_fp8_fp8 v[112:115], a[158:159], a[78:79], v[112:115]// 00000000A1A0: D3F30070 1DC29D9E
	v_mfma_f32_16x16x32_fp8_fp8 v[88:91], a[144:145], a[80:81], v[88:91]// 00000000A1A8: D3F30058 1D62A190
	buffer_load_dword v64, s[20:23], 0 offen lds               // 00000000A1B0: E0511000 80050040
	s_add_u32 m0, 0x700, s48                                   // 00000000A1B8: 807C30FF 00000700
	v_mfma_f32_16x16x32_fp8_fp8 v[88:91], a[146:147], a[82:83], v[88:91]// 00000000A1C0: D3F30058 1D62A592
	v_mfma_f32_16x16x32_fp8_fp8 v[88:91], a[148:149], a[84:85], v[88:91]// 00000000A1C8: D3F30058 1D62A994
	buffer_load_dword v65, s[20:23], 0 offen lds               // 00000000A1D0: E0511000 80050041
	s_add_u32 m0, 0x800, s48                                   // 00000000A1D8: 807C30FF 00000800
	v_mfma_f32_16x16x32_fp8_fp8 v[88:91], a[150:151], a[86:87], v[88:91]// 00000000A1E0: D3F30058 1D62AD96
	v_mfma_f32_16x16x32_fp8_fp8 v[116:119], a[152:153], a[80:81], v[116:119]// 00000000A1E8: D3F30074 1DD2A198
	buffer_load_dword v66, s[20:23], 0 offen lds               // 00000000A1F0: E0511000 80050042
	s_add_u32 m0, 0x900, s48                                   // 00000000A1F8: 807C30FF 00000900
	v_mfma_f32_16x16x32_fp8_fp8 v[116:119], a[154:155], a[82:83], v[116:119]// 00000000A200: D3F30074 1DD2A59A
	v_mfma_f32_16x16x32_fp8_fp8 v[116:119], a[156:157], a[84:85], v[116:119]// 00000000A208: D3F30074 1DD2A99C
	buffer_load_dword v67, s[20:23], 0 offen lds               // 00000000A210: E0511000 80050043
	s_add_u32 m0, 0xa00, s48                                   // 00000000A218: 807C30FF 00000A00
	v_mfma_f32_16x16x32_fp8_fp8 v[116:119], a[158:159], a[86:87], v[116:119]// 00000000A220: D3F30074 1DD2AD9E
	v_mfma_f32_16x16x32_fp8_fp8 v[92:95], a[144:145], a[88:89], v[92:95]// 00000000A228: D3F3005C 1D72B190
	buffer_load_dword v68, s[20:23], 0 offen lds               // 00000000A230: E0511000 80050044
	s_add_u32 m0, 0xb00, s48                                   // 00000000A238: 807C30FF 00000B00
	v_mfma_f32_16x16x32_fp8_fp8 v[92:95], a[146:147], a[90:91], v[92:95]// 00000000A240: D3F3005C 1D72B592
	v_mfma_f32_16x16x32_fp8_fp8 v[92:95], a[148:149], a[92:93], v[92:95]// 00000000A248: D3F3005C 1D72B994
	buffer_load_dword v69, s[20:23], 0 offen lds               // 00000000A250: E0511000 80050045
	s_add_u32 m0, 0xc00, s48                                   // 00000000A258: 807C30FF 00000C00
	v_mfma_f32_16x16x32_fp8_fp8 v[92:95], a[150:151], a[94:95], v[92:95]// 00000000A260: D3F3005C 1D72BD96
	v_mfma_f32_16x16x32_fp8_fp8 v[120:123], a[152:153], a[88:89], v[120:123]// 00000000A268: D3F30078 1DE2B198
	buffer_load_dword v70, s[20:23], 0 offen lds               // 00000000A270: E0511000 80050046
	s_add_u32 m0, 0xd00, s48                                   // 00000000A278: 807C30FF 00000D00
	v_mfma_f32_16x16x32_fp8_fp8 v[120:123], a[154:155], a[90:91], v[120:123]// 00000000A280: D3F30078 1DE2B59A
	v_mfma_f32_16x16x32_fp8_fp8 v[120:123], a[156:157], a[92:93], v[120:123]// 00000000A288: D3F30078 1DE2B99C
	buffer_load_dword v71, s[20:23], 0 offen lds               // 00000000A290: E0511000 80050047
	s_add_u32 m0, 0, s49                                       // 00000000A298: 807C3180
	v_mfma_f32_16x16x32_fp8_fp8 v[120:123], a[158:159], a[94:95], v[120:123]// 00000000A29C: D3F30078 1DE2BD9E
	v_mfma_f32_16x16x32_fp8_fp8 v[96:99], a[144:145], a[96:97], v[96:99]// 00000000A2A4: D3F30060 1D82C190
	v_mfma_f32_16x16x32_fp8_fp8 v[96:99], a[146:147], a[98:99], v[96:99]// 00000000A2AC: D3F30060 1D82C592
	v_mfma_f32_16x16x32_fp8_fp8 v[96:99], a[148:149], a[100:101], v[96:99]// 00000000A2B4: D3F30060 1D82C994
	v_mfma_f32_16x16x32_fp8_fp8 v[96:99], a[150:151], a[102:103], v[96:99]// 00000000A2BC: D3F30060 1D82CD96
	v_mfma_f32_16x16x32_fp8_fp8 v[124:127], a[152:153], a[96:97], v[124:127]// 00000000A2C4: D3F3007C 1DF2C198
	v_mfma_f32_16x16x32_fp8_fp8 v[124:127], a[154:155], a[98:99], v[124:127]// 00000000A2CC: D3F3007C 1DF2C59A
	v_mfma_f32_16x16x32_fp8_fp8 v[124:127], a[156:157], a[100:101], v[124:127]// 00000000A2D4: D3F3007C 1DF2C99C
	v_mfma_f32_16x16x32_fp8_fp8 v[124:127], a[158:159], a[102:103], v[124:127]// 00000000A2DC: D3F3007C 1DF2CD9E
	v_mfma_f32_16x16x32_fp8_fp8 v[100:103], a[144:145], a[104:105], v[100:103]// 00000000A2E4: D3F30064 1D92D190
	v_mfma_f32_16x16x32_fp8_fp8 v[100:103], a[146:147], a[106:107], v[100:103]// 00000000A2EC: D3F30064 1D92D592
	v_mfma_f32_16x16x32_fp8_fp8 v[100:103], a[148:149], a[108:109], v[100:103]// 00000000A2F4: D3F30064 1D92D994
	v_mfma_f32_16x16x32_fp8_fp8 v[100:103], a[150:151], a[110:111], v[100:103]// 00000000A2FC: D3F30064 1D92DD96
	v_mfma_f32_16x16x32_fp8_fp8 v[128:131], a[152:153], a[104:105], v[128:131]// 00000000A304: D3F30080 1E02D198
	v_mfma_f32_16x16x32_fp8_fp8 v[128:131], a[154:155], a[106:107], v[128:131]// 00000000A30C: D3F30080 1E02D59A
	v_mfma_f32_16x16x32_fp8_fp8 v[128:131], a[156:157], a[108:109], v[128:131]// 00000000A314: D3F30080 1E02D99C
	v_mfma_f32_16x16x32_fp8_fp8 v[128:131], a[158:159], a[110:111], v[128:131]// 00000000A31C: D3F30080 1E02DD9E
	s_waitcnt vmcnt(18)                                        // 00000000A324: BF8C4F72
	s_barrier                                                  // 00000000A328: BF8A0000
	v_mfma_f32_16x16x32_fp8_fp8 v[132:135], a[112:113], a[56:57], v[132:135]// 00000000A32C: D3F30084 1E127170
	buffer_load_dwordx4 a[144:147], v72, s[84:87], 0 offen     // 00000000A334: E05C1000 80959048
	v_mfma_f32_16x16x32_fp8_fp8 v[132:135], a[114:115], a[58:59], v[132:135]// 00000000A33C: D3F30084 1E127572
	v_mfma_f32_16x16x32_fp8_fp8 v[132:135], a[116:117], a[60:61], v[132:135]// 00000000A344: D3F30084 1E127974
	ds_read_b128 a[0:3], v2 offset:28928                       // 00000000A34C: DBFE7100 00000002
	ds_read_b128 a[4:7], v2 offset:28992                       // 00000000A354: DBFE7140 04000002
	v_mfma_f32_16x16x32_fp8_fp8 v[132:135], a[118:119], a[62:63], v[132:135]// 00000000A35C: D3F30084 1E127D76
	v_mfma_f32_16x16x32_fp8_fp8 v[160:163], a[120:121], a[56:57], v[160:163]// 00000000A364: D3F300A0 1E827178
	buffer_load_dwordx4 a[148:151], v72, s[84:87], 0 offen offset:1024// 00000000A36C: E05C1400 80959448
	v_mfma_f32_16x16x32_fp8_fp8 v[160:163], a[122:123], a[58:59], v[160:163]// 00000000A374: D3F300A0 1E82757A
	v_mfma_f32_16x16x32_fp8_fp8 v[160:163], a[124:125], a[60:61], v[160:163]// 00000000A37C: D3F300A0 1E82797C
	ds_read_b128 a[8:11], v2 offset:29440                      // 00000000A384: DBFE7300 08000002
	ds_read_b128 a[12:15], v2 offset:29504                     // 00000000A38C: DBFE7340 0C000002
	v_mfma_f32_16x16x32_fp8_fp8 v[160:163], a[126:127], a[62:63], v[160:163]// 00000000A394: D3F300A0 1E827D7E
	v_mfma_f32_16x16x32_fp8_fp8 v[136:139], a[112:113], a[64:65], v[136:139]// 00000000A39C: D3F30088 1E228170
	buffer_load_dwordx4 a[152:155], v73, s[84:87], 0 offen     // 00000000A3A4: E05C1000 80959849
	v_mfma_f32_16x16x32_fp8_fp8 v[136:139], a[114:115], a[66:67], v[136:139]// 00000000A3AC: D3F30088 1E228572
	v_mfma_f32_16x16x32_fp8_fp8 v[136:139], a[116:117], a[68:69], v[136:139]// 00000000A3B4: D3F30088 1E228974
	ds_read_b128 a[16:19], v2 offset:29952                     // 00000000A3BC: DBFE7500 10000002
	ds_read_b128 a[20:23], v2 offset:30016                     // 00000000A3C4: DBFE7540 14000002
	v_mfma_f32_16x16x32_fp8_fp8 v[136:139], a[118:119], a[70:71], v[136:139]// 00000000A3CC: D3F30088 1E228D76
	v_mfma_f32_16x16x32_fp8_fp8 v[164:167], a[120:121], a[64:65], v[164:167]// 00000000A3D4: D3F300A4 1E928178
	buffer_load_dwordx4 a[156:159], v73, s[84:87], 0 offen offset:1024// 00000000A3DC: E05C1400 80959C49
	v_mfma_f32_16x16x32_fp8_fp8 v[164:167], a[122:123], a[66:67], v[164:167]// 00000000A3E4: D3F300A4 1E92857A
	v_mfma_f32_16x16x32_fp8_fp8 v[164:167], a[124:125], a[68:69], v[164:167]// 00000000A3EC: D3F300A4 1E92897C
	ds_read_b128 a[24:27], v2 offset:30464                     // 00000000A3F4: DBFE7700 18000002
	ds_read_b128 a[28:31], v2 offset:30528                     // 00000000A3FC: DBFE7740 1C000002
	v_mfma_f32_16x16x32_fp8_fp8 v[164:167], a[126:127], a[70:71], v[164:167]// 00000000A404: D3F300A4 1E928D7E
	v_mfma_f32_16x16x32_fp8_fp8 v[140:143], a[112:113], a[72:73], v[140:143]// 00000000A40C: D3F3008C 1E329170
	v_mfma_f32_16x16x32_fp8_fp8 v[140:143], a[114:115], a[74:75], v[140:143]// 00000000A414: D3F3008C 1E329572
	v_mfma_f32_16x16x32_fp8_fp8 v[140:143], a[116:117], a[76:77], v[140:143]// 00000000A41C: D3F3008C 1E329974
	ds_read_b128 a[32:35], v2 offset:30976                     // 00000000A424: DBFE7900 20000002
	ds_read_b128 a[36:39], v2 offset:31040                     // 00000000A42C: DBFE7940 24000002
	v_mfma_f32_16x16x32_fp8_fp8 v[140:143], a[118:119], a[78:79], v[140:143]// 00000000A434: D3F3008C 1E329D76
	v_mfma_f32_16x16x32_fp8_fp8 v[168:171], a[120:121], a[72:73], v[168:171]// 00000000A43C: D3F300A8 1EA29178
	v_mfma_f32_16x16x32_fp8_fp8 v[168:171], a[122:123], a[74:75], v[168:171]// 00000000A444: D3F300A8 1EA2957A
	v_mfma_f32_16x16x32_fp8_fp8 v[168:171], a[124:125], a[76:77], v[168:171]// 00000000A44C: D3F300A8 1EA2997C
	ds_read_b128 a[40:43], v2 offset:31488                     // 00000000A454: DBFE7B00 28000002
	ds_read_b128 a[44:47], v2 offset:31552                     // 00000000A45C: DBFE7B40 2C000002
	v_mfma_f32_16x16x32_fp8_fp8 v[168:171], a[126:127], a[78:79], v[168:171]// 00000000A464: D3F300A8 1EA29D7E
	v_mfma_f32_16x16x32_fp8_fp8 v[144:147], a[112:113], a[80:81], v[144:147]// 00000000A46C: D3F30090 1E42A170
	v_mfma_f32_16x16x32_fp8_fp8 v[144:147], a[114:115], a[82:83], v[144:147]// 00000000A474: D3F30090 1E42A572
	v_mfma_f32_16x16x32_fp8_fp8 v[144:147], a[116:117], a[84:85], v[144:147]// 00000000A47C: D3F30090 1E42A974
	ds_read_b128 a[48:51], v2 offset:32000                     // 00000000A484: DBFE7D00 30000002
	ds_read_b128 a[52:55], v2 offset:32064                     // 00000000A48C: DBFE7D40 34000002
	v_mfma_f32_16x16x32_fp8_fp8 v[144:147], a[118:119], a[86:87], v[144:147]// 00000000A494: D3F30090 1E42AD76
	v_mfma_f32_16x16x32_fp8_fp8 v[172:175], a[120:121], a[80:81], v[172:175]// 00000000A49C: D3F300AC 1EB2A178
	v_mfma_f32_16x16x32_fp8_fp8 v[172:175], a[122:123], a[82:83], v[172:175]// 00000000A4A4: D3F300AC 1EB2A57A
	v_mfma_f32_16x16x32_fp8_fp8 v[172:175], a[124:125], a[84:85], v[172:175]// 00000000A4AC: D3F300AC 1EB2A97C
	v_mfma_f32_16x16x32_fp8_fp8 v[172:175], a[126:127], a[86:87], v[172:175]// 00000000A4B4: D3F300AC 1EB2AD7E
	v_mfma_f32_16x16x32_fp8_fp8 v[148:151], a[112:113], a[88:89], v[148:151]// 00000000A4BC: D3F30094 1E52B170
	v_mfma_f32_16x16x32_fp8_fp8 v[148:151], a[114:115], a[90:91], v[148:151]// 00000000A4C4: D3F30094 1E52B572
	v_mfma_f32_16x16x32_fp8_fp8 v[148:151], a[116:117], a[92:93], v[148:151]// 00000000A4CC: D3F30094 1E52B974
	v_mfma_f32_16x16x32_fp8_fp8 v[148:151], a[118:119], a[94:95], v[148:151]// 00000000A4D4: D3F30094 1E52BD76
	v_mfma_f32_16x16x32_fp8_fp8 v[176:179], a[120:121], a[88:89], v[176:179]// 00000000A4DC: D3F300B0 1EC2B178
	v_mfma_f32_16x16x32_fp8_fp8 v[176:179], a[122:123], a[90:91], v[176:179]// 00000000A4E4: D3F300B0 1EC2B57A
	v_mfma_f32_16x16x32_fp8_fp8 v[176:179], a[124:125], a[92:93], v[176:179]// 00000000A4EC: D3F300B0 1EC2B97C
	v_mfma_f32_16x16x32_fp8_fp8 v[176:179], a[126:127], a[94:95], v[176:179]// 00000000A4F4: D3F300B0 1EC2BD7E
	v_mfma_f32_16x16x32_fp8_fp8 v[152:155], a[112:113], a[96:97], v[152:155]// 00000000A4FC: D3F30098 1E62C170
	v_mfma_f32_16x16x32_fp8_fp8 v[152:155], a[114:115], a[98:99], v[152:155]// 00000000A504: D3F30098 1E62C572
	v_mfma_f32_16x16x32_fp8_fp8 v[152:155], a[116:117], a[100:101], v[152:155]// 00000000A50C: D3F30098 1E62C974
	v_mfma_f32_16x16x32_fp8_fp8 v[152:155], a[118:119], a[102:103], v[152:155]// 00000000A514: D3F30098 1E62CD76
	v_mfma_f32_16x16x32_fp8_fp8 v[180:183], a[120:121], a[96:97], v[180:183]// 00000000A51C: D3F300B4 1ED2C178
	v_mfma_f32_16x16x32_fp8_fp8 v[180:183], a[122:123], a[98:99], v[180:183]// 00000000A524: D3F300B4 1ED2C57A
	v_mfma_f32_16x16x32_fp8_fp8 v[180:183], a[124:125], a[100:101], v[180:183]// 00000000A52C: D3F300B4 1ED2C97C
	v_mfma_f32_16x16x32_fp8_fp8 v[180:183], a[126:127], a[102:103], v[180:183]// 00000000A534: D3F300B4 1ED2CD7E
	v_mfma_f32_16x16x32_fp8_fp8 v[156:159], a[112:113], a[104:105], v[156:159]// 00000000A53C: D3F3009C 1E72D170
	s_add_u32 s60, 0x180, s80                                  // 00000000A544: 803C50FF 00000180
	s_cmp_lt_u32 s60, s81                                      // 00000000A54C: BF0A513C
	s_cselect_b32 s57, s57, 0                                  // 00000000A550: 85398039
	v_mfma_f32_16x16x32_fp8_fp8 v[156:159], a[114:115], a[106:107], v[156:159]// 00000000A554: D3F3009C 1E72D572
	s_add_u32 s60, 0x100, s80                                  // 00000000A55C: 803C50FF 00000100
	s_cmp_lt_u32 s60, s81                                      // 00000000A564: BF0A513C
	s_cselect_b32 s58, s58, 0                                  // 00000000A568: 853A803A
	v_mfma_f32_16x16x32_fp8_fp8 v[156:159], a[116:117], a[108:109], v[156:159]// 00000000A56C: D3F3009C 1E72D974
	s_add_u32 s60, 0x100, s80                                  // 00000000A574: 803C50FF 00000100
	s_cmp_lt_u32 s60, s81                                      // 00000000A57C: BF0A513C
	s_cselect_b32 s83, s83, 0                                  // 00000000A580: 85538053
	v_mfma_f32_16x16x32_fp8_fp8 v[156:159], a[118:119], a[110:111], v[156:159]// 00000000A584: D3F3009C 1E72DD76
	s_add_u32 s24, s58, s24                                    // 00000000A58C: 8018183A
	s_addc_u32 s25, 0, s25                                     // 00000000A590: 82191980
	v_mfma_f32_16x16x32_fp8_fp8 v[184:187], a[120:121], a[104:105], v[184:187]// 00000000A594: D3F300B8 1EE2D178
	s_add_u32 s20, s57, s20                                    // 00000000A59C: 80141439
	s_addc_u32 s21, 0, s21                                     // 00000000A5A0: 82151580
	v_mfma_f32_16x16x32_fp8_fp8 v[184:187], a[122:123], a[106:107], v[184:187]// 00000000A5A4: D3F300B8 1EE2D57A
	s_add_u32 s84, s83, s84                                    // 00000000A5AC: 80545453
	s_addc_u32 s85, 0, s85                                     // 00000000A5B0: 82555580
	v_mfma_f32_16x16x32_fp8_fp8 v[184:187], a[124:125], a[108:109], v[184:187]// 00000000A5B4: D3F300B8 1EE2D97C
	v_mfma_f32_16x16x32_fp8_fp8 v[184:187], a[126:127], a[110:111], v[184:187]// 00000000A5BC: D3F300B8 1EE2DD7E
	s_addk_i32 s80, 0x80                                       // 00000000A5C4: B7500080
	s_cmp_lt_i32 s80, s81                                      // 00000000A5C8: BF045150
	s_cbranch_scc0 label_2464                                  // 00000000A5CC: BF84056D
	s_waitcnt vmcnt(18) lgkmcnt(0)                             // 00000000A5D0: BF8C4072
	v_mfma_f32_16x16x32_fp8_fp8 v[76:79], a[128:129], a[0:1], v[76:79]// 00000000A5D4: D3F3004C 1D320180
	buffer_load_dwordx4 a[112:115], v72, s[24:27], 0 offen     // 00000000A5DC: E05C1000 80867048
	v_mfma_f32_16x16x32_fp8_fp8 v[76:79], a[130:131], a[2:3], v[76:79]// 00000000A5E4: D3F3004C 1D320582
	v_mfma_f32_16x16x32_fp8_fp8 v[76:79], a[132:133], a[4:5], v[76:79]// 00000000A5EC: D3F3004C 1D320984
	v_mfma_f32_16x16x32_fp8_fp8 v[76:79], a[134:135], a[6:7], v[76:79]// 00000000A5F4: D3F3004C 1D320D86
	v_mfma_f32_16x16x32_fp8_fp8 v[104:107], a[136:137], a[0:1], v[104:107]// 00000000A5FC: D3F30068 1DA20188
	buffer_load_dwordx4 a[116:119], v72, s[24:27], 0 offen offset:1024// 00000000A604: E05C1400 80867448
	v_mfma_f32_16x16x32_fp8_fp8 v[104:107], a[138:139], a[2:3], v[104:107]// 00000000A60C: D3F30068 1DA2058A
	v_mfma_f32_16x16x32_fp8_fp8 v[104:107], a[140:141], a[4:5], v[104:107]// 00000000A614: D3F30068 1DA2098C
	v_mfma_f32_16x16x32_fp8_fp8 v[104:107], a[142:143], a[6:7], v[104:107]// 00000000A61C: D3F30068 1DA20D8E
	v_mfma_f32_16x16x32_fp8_fp8 v[80:83], a[128:129], a[8:9], v[80:83]// 00000000A624: D3F30050 1D421180
	buffer_load_dwordx4 a[120:123], v73, s[24:27], 0 offen     // 00000000A62C: E05C1000 80867849
	v_mfma_f32_16x16x32_fp8_fp8 v[80:83], a[130:131], a[10:11], v[80:83]// 00000000A634: D3F30050 1D421582
	v_mfma_f32_16x16x32_fp8_fp8 v[80:83], a[132:133], a[12:13], v[80:83]// 00000000A63C: D3F30050 1D421984
	v_mfma_f32_16x16x32_fp8_fp8 v[80:83], a[134:135], a[14:15], v[80:83]// 00000000A644: D3F30050 1D421D86
	v_mfma_f32_16x16x32_fp8_fp8 v[108:111], a[136:137], a[8:9], v[108:111]// 00000000A64C: D3F3006C 1DB21188
	buffer_load_dwordx4 a[124:127], v73, s[24:27], 0 offen offset:1024// 00000000A654: E05C1400 80867C49
	buffer_load_dword v58, s[20:23], 0 offen lds               // 00000000A65C: E0511000 8005003A
	s_add_u32 m0, 0x100, s49                                   // 00000000A664: 807C31FF 00000100
	v_mfma_f32_16x16x32_fp8_fp8 v[108:111], a[138:139], a[10:11], v[108:111]// 00000000A66C: D3F3006C 1DB2158A
	v_mfma_f32_16x16x32_fp8_fp8 v[108:111], a[140:141], a[12:13], v[108:111]// 00000000A674: D3F3006C 1DB2198C
	buffer_load_dword v59, s[20:23], 0 offen lds               // 00000000A67C: E0511000 8005003B
	s_add_u32 m0, 0x200, s49                                   // 00000000A684: 807C31FF 00000200
	v_mfma_f32_16x16x32_fp8_fp8 v[108:111], a[142:143], a[14:15], v[108:111]// 00000000A68C: D3F3006C 1DB21D8E
	v_mfma_f32_16x16x32_fp8_fp8 v[84:87], a[128:129], a[16:17], v[84:87]// 00000000A694: D3F30054 1D522180
	buffer_load_dword v60, s[20:23], 0 offen lds               // 00000000A69C: E0511000 8005003C
	s_add_u32 m0, 0x300, s49                                   // 00000000A6A4: 807C31FF 00000300
	v_mfma_f32_16x16x32_fp8_fp8 v[84:87], a[130:131], a[18:19], v[84:87]// 00000000A6AC: D3F30054 1D522582
	v_mfma_f32_16x16x32_fp8_fp8 v[84:87], a[132:133], a[20:21], v[84:87]// 00000000A6B4: D3F30054 1D522984
	buffer_load_dword v61, s[20:23], 0 offen lds               // 00000000A6BC: E0511000 8005003D
	s_add_u32 m0, 0x400, s49                                   // 00000000A6C4: 807C31FF 00000400
	v_mfma_f32_16x16x32_fp8_fp8 v[84:87], a[134:135], a[22:23], v[84:87]// 00000000A6CC: D3F30054 1D522D86
	v_mfma_f32_16x16x32_fp8_fp8 v[112:115], a[136:137], a[16:17], v[112:115]// 00000000A6D4: D3F30070 1DC22188
	buffer_load_dword v62, s[20:23], 0 offen lds               // 00000000A6DC: E0511000 8005003E
	s_add_u32 m0, 0x500, s49                                   // 00000000A6E4: 807C31FF 00000500
	v_mfma_f32_16x16x32_fp8_fp8 v[112:115], a[138:139], a[18:19], v[112:115]// 00000000A6EC: D3F30070 1DC2258A
	v_mfma_f32_16x16x32_fp8_fp8 v[112:115], a[140:141], a[20:21], v[112:115]// 00000000A6F4: D3F30070 1DC2298C
	buffer_load_dword v63, s[20:23], 0 offen lds               // 00000000A6FC: E0511000 8005003F
	s_add_u32 m0, 0x600, s49                                   // 00000000A704: 807C31FF 00000600
	v_mfma_f32_16x16x32_fp8_fp8 v[112:115], a[142:143], a[22:23], v[112:115]// 00000000A70C: D3F30070 1DC22D8E
	v_mfma_f32_16x16x32_fp8_fp8 v[88:91], a[128:129], a[24:25], v[88:91]// 00000000A714: D3F30058 1D623180
	buffer_load_dword v64, s[20:23], 0 offen lds               // 00000000A71C: E0511000 80050040
	s_add_u32 m0, 0x700, s49                                   // 00000000A724: 807C31FF 00000700
	v_mfma_f32_16x16x32_fp8_fp8 v[88:91], a[130:131], a[26:27], v[88:91]// 00000000A72C: D3F30058 1D623582
	v_mfma_f32_16x16x32_fp8_fp8 v[88:91], a[132:133], a[28:29], v[88:91]// 00000000A734: D3F30058 1D623984
	buffer_load_dword v65, s[20:23], 0 offen lds               // 00000000A73C: E0511000 80050041
	s_add_u32 m0, 0x800, s49                                   // 00000000A744: 807C31FF 00000800
	v_mfma_f32_16x16x32_fp8_fp8 v[88:91], a[134:135], a[30:31], v[88:91]// 00000000A74C: D3F30058 1D623D86
	v_mfma_f32_16x16x32_fp8_fp8 v[116:119], a[136:137], a[24:25], v[116:119]// 00000000A754: D3F30074 1DD23188
	buffer_load_dword v66, s[20:23], 0 offen lds               // 00000000A75C: E0511000 80050042
	s_add_u32 m0, 0x900, s49                                   // 00000000A764: 807C31FF 00000900
	v_mfma_f32_16x16x32_fp8_fp8 v[116:119], a[138:139], a[26:27], v[116:119]// 00000000A76C: D3F30074 1DD2358A
	v_mfma_f32_16x16x32_fp8_fp8 v[116:119], a[140:141], a[28:29], v[116:119]// 00000000A774: D3F30074 1DD2398C
	buffer_load_dword v67, s[20:23], 0 offen lds               // 00000000A77C: E0511000 80050043
	s_add_u32 m0, 0xa00, s49                                   // 00000000A784: 807C31FF 00000A00
	v_mfma_f32_16x16x32_fp8_fp8 v[116:119], a[142:143], a[30:31], v[116:119]// 00000000A78C: D3F30074 1DD23D8E
	v_mfma_f32_16x16x32_fp8_fp8 v[92:95], a[128:129], a[32:33], v[92:95]// 00000000A794: D3F3005C 1D724180
	buffer_load_dword v68, s[20:23], 0 offen lds               // 00000000A79C: E0511000 80050044
	s_add_u32 m0, 0xb00, s49                                   // 00000000A7A4: 807C31FF 00000B00
	v_mfma_f32_16x16x32_fp8_fp8 v[92:95], a[130:131], a[34:35], v[92:95]// 00000000A7AC: D3F3005C 1D724582
	v_mfma_f32_16x16x32_fp8_fp8 v[92:95], a[132:133], a[36:37], v[92:95]// 00000000A7B4: D3F3005C 1D724984
	buffer_load_dword v69, s[20:23], 0 offen lds               // 00000000A7BC: E0511000 80050045
	s_add_u32 m0, 0xc00, s49                                   // 00000000A7C4: 807C31FF 00000C00
	v_mfma_f32_16x16x32_fp8_fp8 v[92:95], a[134:135], a[38:39], v[92:95]// 00000000A7CC: D3F3005C 1D724D86
	v_mfma_f32_16x16x32_fp8_fp8 v[120:123], a[136:137], a[32:33], v[120:123]// 00000000A7D4: D3F30078 1DE24188
	buffer_load_dword v70, s[20:23], 0 offen lds               // 00000000A7DC: E0511000 80050046
	s_add_u32 m0, 0xd00, s49                                   // 00000000A7E4: 807C31FF 00000D00
	v_mfma_f32_16x16x32_fp8_fp8 v[120:123], a[138:139], a[34:35], v[120:123]// 00000000A7EC: D3F30078 1DE2458A
	v_mfma_f32_16x16x32_fp8_fp8 v[120:123], a[140:141], a[36:37], v[120:123]// 00000000A7F4: D3F30078 1DE2498C
	buffer_load_dword v71, s[20:23], 0 offen lds               // 00000000A7FC: E0511000 80050047
	s_add_u32 m0, 0, s50                                       // 00000000A804: 807C3280
	v_mfma_f32_16x16x32_fp8_fp8 v[120:123], a[142:143], a[38:39], v[120:123]// 00000000A808: D3F30078 1DE24D8E
	v_mfma_f32_16x16x32_fp8_fp8 v[96:99], a[128:129], a[40:41], v[96:99]// 00000000A810: D3F30060 1D825180
	v_mfma_f32_16x16x32_fp8_fp8 v[96:99], a[130:131], a[42:43], v[96:99]// 00000000A818: D3F30060 1D825582
	v_mfma_f32_16x16x32_fp8_fp8 v[96:99], a[132:133], a[44:45], v[96:99]// 00000000A820: D3F30060 1D825984
	v_mfma_f32_16x16x32_fp8_fp8 v[96:99], a[134:135], a[46:47], v[96:99]// 00000000A828: D3F30060 1D825D86
	v_mfma_f32_16x16x32_fp8_fp8 v[124:127], a[136:137], a[40:41], v[124:127]// 00000000A830: D3F3007C 1DF25188
	v_mfma_f32_16x16x32_fp8_fp8 v[124:127], a[138:139], a[42:43], v[124:127]// 00000000A838: D3F3007C 1DF2558A
	v_mfma_f32_16x16x32_fp8_fp8 v[124:127], a[140:141], a[44:45], v[124:127]// 00000000A840: D3F3007C 1DF2598C
	v_mfma_f32_16x16x32_fp8_fp8 v[124:127], a[142:143], a[46:47], v[124:127]// 00000000A848: D3F3007C 1DF25D8E
	v_mfma_f32_16x16x32_fp8_fp8 v[100:103], a[128:129], a[48:49], v[100:103]// 00000000A850: D3F30064 1D926180
	v_mfma_f32_16x16x32_fp8_fp8 v[100:103], a[130:131], a[50:51], v[100:103]// 00000000A858: D3F30064 1D926582
	v_mfma_f32_16x16x32_fp8_fp8 v[100:103], a[132:133], a[52:53], v[100:103]// 00000000A860: D3F30064 1D926984
	v_mfma_f32_16x16x32_fp8_fp8 v[100:103], a[134:135], a[54:55], v[100:103]// 00000000A868: D3F30064 1D926D86
	v_mfma_f32_16x16x32_fp8_fp8 v[128:131], a[136:137], a[48:49], v[128:131]// 00000000A870: D3F30080 1E026188
	v_mfma_f32_16x16x32_fp8_fp8 v[128:131], a[138:139], a[50:51], v[128:131]// 00000000A878: D3F30080 1E02658A
	v_mfma_f32_16x16x32_fp8_fp8 v[128:131], a[140:141], a[52:53], v[128:131]// 00000000A880: D3F30080 1E02698C
	v_mfma_f32_16x16x32_fp8_fp8 v[128:131], a[142:143], a[54:55], v[128:131]// 00000000A888: D3F30080 1E026D8E
	s_waitcnt vmcnt(18)                                        // 00000000A890: BF8C4F72
	s_barrier                                                  // 00000000A894: BF8A0000
	v_mfma_f32_16x16x32_fp8_fp8 v[132:135], a[144:145], a[0:1], v[132:135]// 00000000A898: D3F30084 1E120190
	buffer_load_dwordx4 a[128:131], v72, s[84:87], 0 offen     // 00000000A8A0: E05C1000 80958048
	v_mfma_f32_16x16x32_fp8_fp8 v[132:135], a[146:147], a[2:3], v[132:135]// 00000000A8A8: D3F30084 1E120592
	v_mfma_f32_16x16x32_fp8_fp8 v[132:135], a[148:149], a[4:5], v[132:135]// 00000000A8B0: D3F30084 1E120994
	ds_read_b128 a[56:59], v2                                  // 00000000A8B8: DBFE0000 38000002
	ds_read_b128 a[60:63], v2 offset:64                        // 00000000A8C0: DBFE0040 3C000002
	v_mfma_f32_16x16x32_fp8_fp8 v[132:135], a[150:151], a[6:7], v[132:135]// 00000000A8C8: D3F30084 1E120D96
	v_mfma_f32_16x16x32_fp8_fp8 v[160:163], a[152:153], a[0:1], v[160:163]// 00000000A8D0: D3F300A0 1E820198
	buffer_load_dwordx4 a[132:135], v72, s[84:87], 0 offen offset:1024// 00000000A8D8: E05C1400 80958448
	v_mfma_f32_16x16x32_fp8_fp8 v[160:163], a[154:155], a[2:3], v[160:163]// 00000000A8E0: D3F300A0 1E82059A
	v_mfma_f32_16x16x32_fp8_fp8 v[160:163], a[156:157], a[4:5], v[160:163]// 00000000A8E8: D3F300A0 1E82099C
	ds_read_b128 a[64:67], v2 offset:512                       // 00000000A8F0: DBFE0200 40000002
	ds_read_b128 a[68:71], v2 offset:576                       // 00000000A8F8: DBFE0240 44000002
	v_mfma_f32_16x16x32_fp8_fp8 v[160:163], a[158:159], a[6:7], v[160:163]// 00000000A900: D3F300A0 1E820D9E
	v_mfma_f32_16x16x32_fp8_fp8 v[136:139], a[144:145], a[8:9], v[136:139]// 00000000A908: D3F30088 1E221190
	buffer_load_dwordx4 a[136:139], v73, s[84:87], 0 offen     // 00000000A910: E05C1000 80958849
	v_mfma_f32_16x16x32_fp8_fp8 v[136:139], a[146:147], a[10:11], v[136:139]// 00000000A918: D3F30088 1E221592
	v_mfma_f32_16x16x32_fp8_fp8 v[136:139], a[148:149], a[12:13], v[136:139]// 00000000A920: D3F30088 1E221994
	ds_read_b128 a[72:75], v2 offset:1024                      // 00000000A928: DBFE0400 48000002
	ds_read_b128 a[76:79], v2 offset:1088                      // 00000000A930: DBFE0440 4C000002
	v_mfma_f32_16x16x32_fp8_fp8 v[136:139], a[150:151], a[14:15], v[136:139]// 00000000A938: D3F30088 1E221D96
	v_mfma_f32_16x16x32_fp8_fp8 v[164:167], a[152:153], a[8:9], v[164:167]// 00000000A940: D3F300A4 1E921198
	buffer_load_dwordx4 a[140:143], v73, s[84:87], 0 offen offset:1024// 00000000A948: E05C1400 80958C49
	v_mfma_f32_16x16x32_fp8_fp8 v[164:167], a[154:155], a[10:11], v[164:167]// 00000000A950: D3F300A4 1E92159A
	v_mfma_f32_16x16x32_fp8_fp8 v[164:167], a[156:157], a[12:13], v[164:167]// 00000000A958: D3F300A4 1E92199C
	ds_read_b128 a[80:83], v2 offset:1536                      // 00000000A960: DBFE0600 50000002
	ds_read_b128 a[84:87], v2 offset:1600                      // 00000000A968: DBFE0640 54000002
	v_mfma_f32_16x16x32_fp8_fp8 v[164:167], a[158:159], a[14:15], v[164:167]// 00000000A970: D3F300A4 1E921D9E
	v_mfma_f32_16x16x32_fp8_fp8 v[140:143], a[144:145], a[16:17], v[140:143]// 00000000A978: D3F3008C 1E322190
	v_mfma_f32_16x16x32_fp8_fp8 v[140:143], a[146:147], a[18:19], v[140:143]// 00000000A980: D3F3008C 1E322592
	v_mfma_f32_16x16x32_fp8_fp8 v[140:143], a[148:149], a[20:21], v[140:143]// 00000000A988: D3F3008C 1E322994
	ds_read_b128 a[88:91], v2 offset:2048                      // 00000000A990: DBFE0800 58000002
	ds_read_b128 a[92:95], v2 offset:2112                      // 00000000A998: DBFE0840 5C000002
	v_mfma_f32_16x16x32_fp8_fp8 v[140:143], a[150:151], a[22:23], v[140:143]// 00000000A9A0: D3F3008C 1E322D96
	v_mfma_f32_16x16x32_fp8_fp8 v[168:171], a[152:153], a[16:17], v[168:171]// 00000000A9A8: D3F300A8 1EA22198
	v_mfma_f32_16x16x32_fp8_fp8 v[168:171], a[154:155], a[18:19], v[168:171]// 00000000A9B0: D3F300A8 1EA2259A
	v_mfma_f32_16x16x32_fp8_fp8 v[168:171], a[156:157], a[20:21], v[168:171]// 00000000A9B8: D3F300A8 1EA2299C
	ds_read_b128 a[96:99], v2 offset:2560                      // 00000000A9C0: DBFE0A00 60000002
	ds_read_b128 a[100:103], v2 offset:2624                    // 00000000A9C8: DBFE0A40 64000002
	v_mfma_f32_16x16x32_fp8_fp8 v[168:171], a[158:159], a[22:23], v[168:171]// 00000000A9D0: D3F300A8 1EA22D9E
	v_mfma_f32_16x16x32_fp8_fp8 v[144:147], a[144:145], a[24:25], v[144:147]// 00000000A9D8: D3F30090 1E423190
	v_mfma_f32_16x16x32_fp8_fp8 v[144:147], a[146:147], a[26:27], v[144:147]// 00000000A9E0: D3F30090 1E423592
	v_mfma_f32_16x16x32_fp8_fp8 v[144:147], a[148:149], a[28:29], v[144:147]// 00000000A9E8: D3F30090 1E423994
	ds_read_b128 a[104:107], v2 offset:3072                    // 00000000A9F0: DBFE0C00 68000002
	ds_read_b128 a[108:111], v2 offset:3136                    // 00000000A9F8: DBFE0C40 6C000002
	v_mfma_f32_16x16x32_fp8_fp8 v[144:147], a[150:151], a[30:31], v[144:147]// 00000000AA00: D3F30090 1E423D96
	v_mfma_f32_16x16x32_fp8_fp8 v[172:175], a[152:153], a[24:25], v[172:175]// 00000000AA08: D3F300AC 1EB23198
	v_mfma_f32_16x16x32_fp8_fp8 v[172:175], a[154:155], a[26:27], v[172:175]// 00000000AA10: D3F300AC 1EB2359A
	v_mfma_f32_16x16x32_fp8_fp8 v[172:175], a[156:157], a[28:29], v[172:175]// 00000000AA18: D3F300AC 1EB2399C
	v_mfma_f32_16x16x32_fp8_fp8 v[172:175], a[158:159], a[30:31], v[172:175]// 00000000AA20: D3F300AC 1EB23D9E
	v_mfma_f32_16x16x32_fp8_fp8 v[148:151], a[144:145], a[32:33], v[148:151]// 00000000AA28: D3F30094 1E524190
	v_mfma_f32_16x16x32_fp8_fp8 v[148:151], a[146:147], a[34:35], v[148:151]// 00000000AA30: D3F30094 1E524592
	v_mfma_f32_16x16x32_fp8_fp8 v[148:151], a[148:149], a[36:37], v[148:151]// 00000000AA38: D3F30094 1E524994
	v_mfma_f32_16x16x32_fp8_fp8 v[148:151], a[150:151], a[38:39], v[148:151]// 00000000AA40: D3F30094 1E524D96
	v_mfma_f32_16x16x32_fp8_fp8 v[176:179], a[152:153], a[32:33], v[176:179]// 00000000AA48: D3F300B0 1EC24198
	v_mfma_f32_16x16x32_fp8_fp8 v[176:179], a[154:155], a[34:35], v[176:179]// 00000000AA50: D3F300B0 1EC2459A
	v_mfma_f32_16x16x32_fp8_fp8 v[176:179], a[156:157], a[36:37], v[176:179]// 00000000AA58: D3F300B0 1EC2499C
	v_mfma_f32_16x16x32_fp8_fp8 v[176:179], a[158:159], a[38:39], v[176:179]// 00000000AA60: D3F300B0 1EC24D9E
	v_mfma_f32_16x16x32_fp8_fp8 v[152:155], a[144:145], a[40:41], v[152:155]// 00000000AA68: D3F30098 1E625190
	v_mfma_f32_16x16x32_fp8_fp8 v[152:155], a[146:147], a[42:43], v[152:155]// 00000000AA70: D3F30098 1E625592
	v_mfma_f32_16x16x32_fp8_fp8 v[152:155], a[148:149], a[44:45], v[152:155]// 00000000AA78: D3F30098 1E625994
	v_mfma_f32_16x16x32_fp8_fp8 v[152:155], a[150:151], a[46:47], v[152:155]// 00000000AA80: D3F30098 1E625D96
	v_mfma_f32_16x16x32_fp8_fp8 v[180:183], a[152:153], a[40:41], v[180:183]// 00000000AA88: D3F300B4 1ED25198
	v_mfma_f32_16x16x32_fp8_fp8 v[180:183], a[154:155], a[42:43], v[180:183]// 00000000AA90: D3F300B4 1ED2559A
	v_mfma_f32_16x16x32_fp8_fp8 v[180:183], a[156:157], a[44:45], v[180:183]// 00000000AA98: D3F300B4 1ED2599C
	v_mfma_f32_16x16x32_fp8_fp8 v[180:183], a[158:159], a[46:47], v[180:183]// 00000000AAA0: D3F300B4 1ED25D9E
	v_mfma_f32_16x16x32_fp8_fp8 v[156:159], a[144:145], a[48:49], v[156:159]// 00000000AAA8: D3F3009C 1E726190
	s_add_u32 s60, 0x180, s80                                  // 00000000AAB0: 803C50FF 00000180
	s_cmp_lt_u32 s60, s81                                      // 00000000AAB8: BF0A513C
	s_cselect_b32 s57, s57, 0                                  // 00000000AABC: 85398039
	v_mfma_f32_16x16x32_fp8_fp8 v[156:159], a[146:147], a[50:51], v[156:159]// 00000000AAC0: D3F3009C 1E726592
	s_add_u32 s60, 0x100, s80                                  // 00000000AAC8: 803C50FF 00000100
	s_cmp_lt_u32 s60, s81                                      // 00000000AAD0: BF0A513C
	s_cselect_b32 s58, s58, 0                                  // 00000000AAD4: 853A803A
	v_mfma_f32_16x16x32_fp8_fp8 v[156:159], a[148:149], a[52:53], v[156:159]// 00000000AAD8: D3F3009C 1E726994
	s_add_u32 s60, 0x100, s80                                  // 00000000AAE0: 803C50FF 00000100
	s_cmp_lt_u32 s60, s81                                      // 00000000AAE8: BF0A513C
	s_cselect_b32 s83, s83, 0                                  // 00000000AAEC: 85538053
	v_mfma_f32_16x16x32_fp8_fp8 v[156:159], a[150:151], a[54:55], v[156:159]// 00000000AAF0: D3F3009C 1E726D96
	s_add_u32 s24, s58, s24                                    // 00000000AAF8: 8018183A
	s_addc_u32 s25, 0, s25                                     // 00000000AAFC: 82191980
	v_mfma_f32_16x16x32_fp8_fp8 v[184:187], a[152:153], a[48:49], v[184:187]// 00000000AB00: D3F300B8 1EE26198
	s_add_u32 s20, s57, s20                                    // 00000000AB08: 80141439
	s_addc_u32 s21, 0, s21                                     // 00000000AB0C: 82151580
	v_mfma_f32_16x16x32_fp8_fp8 v[184:187], a[154:155], a[50:51], v[184:187]// 00000000AB10: D3F300B8 1EE2659A
	s_add_u32 s84, s83, s84                                    // 00000000AB18: 80545453
	s_addc_u32 s85, 0, s85                                     // 00000000AB1C: 82555580
	v_mfma_f32_16x16x32_fp8_fp8 v[184:187], a[156:157], a[52:53], v[184:187]// 00000000AB20: D3F300B8 1EE2699C
	v_mfma_f32_16x16x32_fp8_fp8 v[184:187], a[158:159], a[54:55], v[184:187]// 00000000AB28: D3F300B8 1EE26D9E
	s_addk_i32 s80, 0x80                                       // 00000000AB30: B7500080
	s_cmp_lt_i32 s80, s81                                      // 00000000AB34: BF045150
	s_cbranch_scc0 label_2464                                  // 00000000AB38: BF840412
	s_waitcnt vmcnt(18) lgkmcnt(0)                             // 00000000AB3C: BF8C4072
	v_mfma_f32_16x16x32_fp8_fp8 v[76:79], a[112:113], a[56:57], v[76:79]// 00000000AB40: D3F3004C 1D327170
	buffer_load_dwordx4 a[144:147], v72, s[24:27], 0 offen     // 00000000AB48: E05C1000 80869048
	v_mfma_f32_16x16x32_fp8_fp8 v[76:79], a[114:115], a[58:59], v[76:79]// 00000000AB50: D3F3004C 1D327572
	v_mfma_f32_16x16x32_fp8_fp8 v[76:79], a[116:117], a[60:61], v[76:79]// 00000000AB58: D3F3004C 1D327974
	v_mfma_f32_16x16x32_fp8_fp8 v[76:79], a[118:119], a[62:63], v[76:79]// 00000000AB60: D3F3004C 1D327D76
	v_mfma_f32_16x16x32_fp8_fp8 v[104:107], a[120:121], a[56:57], v[104:107]// 00000000AB68: D3F30068 1DA27178
	buffer_load_dwordx4 a[148:151], v72, s[24:27], 0 offen offset:1024// 00000000AB70: E05C1400 80869448
	v_mfma_f32_16x16x32_fp8_fp8 v[104:107], a[122:123], a[58:59], v[104:107]// 00000000AB78: D3F30068 1DA2757A
	v_mfma_f32_16x16x32_fp8_fp8 v[104:107], a[124:125], a[60:61], v[104:107]// 00000000AB80: D3F30068 1DA2797C
	v_mfma_f32_16x16x32_fp8_fp8 v[104:107], a[126:127], a[62:63], v[104:107]// 00000000AB88: D3F30068 1DA27D7E
	v_mfma_f32_16x16x32_fp8_fp8 v[80:83], a[112:113], a[64:65], v[80:83]// 00000000AB90: D3F30050 1D428170
	buffer_load_dwordx4 a[152:155], v73, s[24:27], 0 offen     // 00000000AB98: E05C1000 80869849
	v_mfma_f32_16x16x32_fp8_fp8 v[80:83], a[114:115], a[66:67], v[80:83]// 00000000ABA0: D3F30050 1D428572
	v_mfma_f32_16x16x32_fp8_fp8 v[80:83], a[116:117], a[68:69], v[80:83]// 00000000ABA8: D3F30050 1D428974
	v_mfma_f32_16x16x32_fp8_fp8 v[80:83], a[118:119], a[70:71], v[80:83]// 00000000ABB0: D3F30050 1D428D76
	v_mfma_f32_16x16x32_fp8_fp8 v[108:111], a[120:121], a[64:65], v[108:111]// 00000000ABB8: D3F3006C 1DB28178
	buffer_load_dwordx4 a[156:159], v73, s[24:27], 0 offen offset:1024// 00000000ABC0: E05C1400 80869C49
	buffer_load_dword v58, s[20:23], 0 offen lds               // 00000000ABC8: E0511000 8005003A
	s_add_u32 m0, 0x100, s50                                   // 00000000ABD0: 807C32FF 00000100
	v_mfma_f32_16x16x32_fp8_fp8 v[108:111], a[122:123], a[66:67], v[108:111]// 00000000ABD8: D3F3006C 1DB2857A
	v_mfma_f32_16x16x32_fp8_fp8 v[108:111], a[124:125], a[68:69], v[108:111]// 00000000ABE0: D3F3006C 1DB2897C
	buffer_load_dword v59, s[20:23], 0 offen lds               // 00000000ABE8: E0511000 8005003B
	s_add_u32 m0, 0x200, s50                                   // 00000000ABF0: 807C32FF 00000200
	v_mfma_f32_16x16x32_fp8_fp8 v[108:111], a[126:127], a[70:71], v[108:111]// 00000000ABF8: D3F3006C 1DB28D7E
	v_mfma_f32_16x16x32_fp8_fp8 v[84:87], a[112:113], a[72:73], v[84:87]// 00000000AC00: D3F30054 1D529170
	buffer_load_dword v60, s[20:23], 0 offen lds               // 00000000AC08: E0511000 8005003C
	s_add_u32 m0, 0x300, s50                                   // 00000000AC10: 807C32FF 00000300
	v_mfma_f32_16x16x32_fp8_fp8 v[84:87], a[114:115], a[74:75], v[84:87]// 00000000AC18: D3F30054 1D529572
	v_mfma_f32_16x16x32_fp8_fp8 v[84:87], a[116:117], a[76:77], v[84:87]// 00000000AC20: D3F30054 1D529974
	buffer_load_dword v61, s[20:23], 0 offen lds               // 00000000AC28: E0511000 8005003D
	s_add_u32 m0, 0x400, s50                                   // 00000000AC30: 807C32FF 00000400
	v_mfma_f32_16x16x32_fp8_fp8 v[84:87], a[118:119], a[78:79], v[84:87]// 00000000AC38: D3F30054 1D529D76
	v_mfma_f32_16x16x32_fp8_fp8 v[112:115], a[120:121], a[72:73], v[112:115]// 00000000AC40: D3F30070 1DC29178
	buffer_load_dword v62, s[20:23], 0 offen lds               // 00000000AC48: E0511000 8005003E
	s_add_u32 m0, 0x500, s50                                   // 00000000AC50: 807C32FF 00000500
	v_mfma_f32_16x16x32_fp8_fp8 v[112:115], a[122:123], a[74:75], v[112:115]// 00000000AC58: D3F30070 1DC2957A
	v_mfma_f32_16x16x32_fp8_fp8 v[112:115], a[124:125], a[76:77], v[112:115]// 00000000AC60: D3F30070 1DC2997C
	buffer_load_dword v63, s[20:23], 0 offen lds               // 00000000AC68: E0511000 8005003F
	s_add_u32 m0, 0x600, s50                                   // 00000000AC70: 807C32FF 00000600
	v_mfma_f32_16x16x32_fp8_fp8 v[112:115], a[126:127], a[78:79], v[112:115]// 00000000AC78: D3F30070 1DC29D7E
	v_mfma_f32_16x16x32_fp8_fp8 v[88:91], a[112:113], a[80:81], v[88:91]// 00000000AC80: D3F30058 1D62A170
	buffer_load_dword v64, s[20:23], 0 offen lds               // 00000000AC88: E0511000 80050040
	s_add_u32 m0, 0x700, s50                                   // 00000000AC90: 807C32FF 00000700
	v_mfma_f32_16x16x32_fp8_fp8 v[88:91], a[114:115], a[82:83], v[88:91]// 00000000AC98: D3F30058 1D62A572
	v_mfma_f32_16x16x32_fp8_fp8 v[88:91], a[116:117], a[84:85], v[88:91]// 00000000ACA0: D3F30058 1D62A974
	buffer_load_dword v65, s[20:23], 0 offen lds               // 00000000ACA8: E0511000 80050041
	s_add_u32 m0, 0x800, s50                                   // 00000000ACB0: 807C32FF 00000800
	v_mfma_f32_16x16x32_fp8_fp8 v[88:91], a[118:119], a[86:87], v[88:91]// 00000000ACB8: D3F30058 1D62AD76
	v_mfma_f32_16x16x32_fp8_fp8 v[116:119], a[120:121], a[80:81], v[116:119]// 00000000ACC0: D3F30074 1DD2A178
	buffer_load_dword v66, s[20:23], 0 offen lds               // 00000000ACC8: E0511000 80050042
	s_add_u32 m0, 0x900, s50                                   // 00000000ACD0: 807C32FF 00000900
	v_mfma_f32_16x16x32_fp8_fp8 v[116:119], a[122:123], a[82:83], v[116:119]// 00000000ACD8: D3F30074 1DD2A57A
	v_mfma_f32_16x16x32_fp8_fp8 v[116:119], a[124:125], a[84:85], v[116:119]// 00000000ACE0: D3F30074 1DD2A97C
	buffer_load_dword v67, s[20:23], 0 offen lds               // 00000000ACE8: E0511000 80050043
	s_add_u32 m0, 0xa00, s50                                   // 00000000ACF0: 807C32FF 00000A00
	v_mfma_f32_16x16x32_fp8_fp8 v[116:119], a[126:127], a[86:87], v[116:119]// 00000000ACF8: D3F30074 1DD2AD7E
	v_mfma_f32_16x16x32_fp8_fp8 v[92:95], a[112:113], a[88:89], v[92:95]// 00000000AD00: D3F3005C 1D72B170
	buffer_load_dword v68, s[20:23], 0 offen lds               // 00000000AD08: E0511000 80050044
	s_add_u32 m0, 0xb00, s50                                   // 00000000AD10: 807C32FF 00000B00
	v_mfma_f32_16x16x32_fp8_fp8 v[92:95], a[114:115], a[90:91], v[92:95]// 00000000AD18: D3F3005C 1D72B572
	v_mfma_f32_16x16x32_fp8_fp8 v[92:95], a[116:117], a[92:93], v[92:95]// 00000000AD20: D3F3005C 1D72B974
	buffer_load_dword v69, s[20:23], 0 offen lds               // 00000000AD28: E0511000 80050045
	s_add_u32 m0, 0xc00, s50                                   // 00000000AD30: 807C32FF 00000C00
	v_mfma_f32_16x16x32_fp8_fp8 v[92:95], a[118:119], a[94:95], v[92:95]// 00000000AD38: D3F3005C 1D72BD76
	v_mfma_f32_16x16x32_fp8_fp8 v[120:123], a[120:121], a[88:89], v[120:123]// 00000000AD40: D3F30078 1DE2B178
	buffer_load_dword v70, s[20:23], 0 offen lds               // 00000000AD48: E0511000 80050046
	s_add_u32 m0, 0xd00, s50                                   // 00000000AD50: 807C32FF 00000D00
	v_mfma_f32_16x16x32_fp8_fp8 v[120:123], a[122:123], a[90:91], v[120:123]// 00000000AD58: D3F30078 1DE2B57A
	v_mfma_f32_16x16x32_fp8_fp8 v[120:123], a[124:125], a[92:93], v[120:123]// 00000000AD60: D3F30078 1DE2B97C
	buffer_load_dword v71, s[20:23], 0 offen lds               // 00000000AD68: E0511000 80050047
	s_add_u32 m0, 0, s48                                       // 00000000AD70: 807C3080
	v_mfma_f32_16x16x32_fp8_fp8 v[120:123], a[126:127], a[94:95], v[120:123]// 00000000AD74: D3F30078 1DE2BD7E
	v_mfma_f32_16x16x32_fp8_fp8 v[96:99], a[112:113], a[96:97], v[96:99]// 00000000AD7C: D3F30060 1D82C170
	v_mfma_f32_16x16x32_fp8_fp8 v[96:99], a[114:115], a[98:99], v[96:99]// 00000000AD84: D3F30060 1D82C572
	v_mfma_f32_16x16x32_fp8_fp8 v[96:99], a[116:117], a[100:101], v[96:99]// 00000000AD8C: D3F30060 1D82C974
	v_mfma_f32_16x16x32_fp8_fp8 v[96:99], a[118:119], a[102:103], v[96:99]// 00000000AD94: D3F30060 1D82CD76
	v_mfma_f32_16x16x32_fp8_fp8 v[124:127], a[120:121], a[96:97], v[124:127]// 00000000AD9C: D3F3007C 1DF2C178
	v_mfma_f32_16x16x32_fp8_fp8 v[124:127], a[122:123], a[98:99], v[124:127]// 00000000ADA4: D3F3007C 1DF2C57A
	v_mfma_f32_16x16x32_fp8_fp8 v[124:127], a[124:125], a[100:101], v[124:127]// 00000000ADAC: D3F3007C 1DF2C97C
	v_mfma_f32_16x16x32_fp8_fp8 v[124:127], a[126:127], a[102:103], v[124:127]// 00000000ADB4: D3F3007C 1DF2CD7E
	v_mfma_f32_16x16x32_fp8_fp8 v[100:103], a[112:113], a[104:105], v[100:103]// 00000000ADBC: D3F30064 1D92D170
	v_mfma_f32_16x16x32_fp8_fp8 v[100:103], a[114:115], a[106:107], v[100:103]// 00000000ADC4: D3F30064 1D92D572
	v_mfma_f32_16x16x32_fp8_fp8 v[100:103], a[116:117], a[108:109], v[100:103]// 00000000ADCC: D3F30064 1D92D974
	v_mfma_f32_16x16x32_fp8_fp8 v[100:103], a[118:119], a[110:111], v[100:103]// 00000000ADD4: D3F30064 1D92DD76
	v_mfma_f32_16x16x32_fp8_fp8 v[128:131], a[120:121], a[104:105], v[128:131]// 00000000ADDC: D3F30080 1E02D178
	v_mfma_f32_16x16x32_fp8_fp8 v[128:131], a[122:123], a[106:107], v[128:131]// 00000000ADE4: D3F30080 1E02D57A
	v_mfma_f32_16x16x32_fp8_fp8 v[128:131], a[124:125], a[108:109], v[128:131]// 00000000ADEC: D3F30080 1E02D97C
	v_mfma_f32_16x16x32_fp8_fp8 v[128:131], a[126:127], a[110:111], v[128:131]// 00000000ADF4: D3F30080 1E02DD7E
	s_waitcnt vmcnt(18)                                        // 00000000ADFC: BF8C4F72
	s_barrier                                                  // 00000000AE00: BF8A0000
	v_mfma_f32_16x16x32_fp8_fp8 v[132:135], a[128:129], a[56:57], v[132:135]// 00000000AE04: D3F30084 1E127180
	buffer_load_dwordx4 a[112:115], v72, s[84:87], 0 offen     // 00000000AE0C: E05C1000 80957048
	v_mfma_f32_16x16x32_fp8_fp8 v[132:135], a[130:131], a[58:59], v[132:135]// 00000000AE14: D3F30084 1E127582
	v_mfma_f32_16x16x32_fp8_fp8 v[132:135], a[132:133], a[60:61], v[132:135]// 00000000AE1C: D3F30084 1E127984
	ds_read_b128 a[0:3], v2 offset:14464                       // 00000000AE24: DBFE3880 00000002
	ds_read_b128 a[4:7], v2 offset:14528                       // 00000000AE2C: DBFE38C0 04000002
	v_mfma_f32_16x16x32_fp8_fp8 v[132:135], a[134:135], a[62:63], v[132:135]// 00000000AE34: D3F30084 1E127D86
	v_mfma_f32_16x16x32_fp8_fp8 v[160:163], a[136:137], a[56:57], v[160:163]// 00000000AE3C: D3F300A0 1E827188
	buffer_load_dwordx4 a[116:119], v72, s[84:87], 0 offen offset:1024// 00000000AE44: E05C1400 80957448
	v_mfma_f32_16x16x32_fp8_fp8 v[160:163], a[138:139], a[58:59], v[160:163]// 00000000AE4C: D3F300A0 1E82758A
	v_mfma_f32_16x16x32_fp8_fp8 v[160:163], a[140:141], a[60:61], v[160:163]// 00000000AE54: D3F300A0 1E82798C
	ds_read_b128 a[8:11], v2 offset:14976                      // 00000000AE5C: DBFE3A80 08000002
	ds_read_b128 a[12:15], v2 offset:15040                     // 00000000AE64: DBFE3AC0 0C000002
	v_mfma_f32_16x16x32_fp8_fp8 v[160:163], a[142:143], a[62:63], v[160:163]// 00000000AE6C: D3F300A0 1E827D8E
	v_mfma_f32_16x16x32_fp8_fp8 v[136:139], a[128:129], a[64:65], v[136:139]// 00000000AE74: D3F30088 1E228180
	buffer_load_dwordx4 a[120:123], v73, s[84:87], 0 offen     // 00000000AE7C: E05C1000 80957849
	v_mfma_f32_16x16x32_fp8_fp8 v[136:139], a[130:131], a[66:67], v[136:139]// 00000000AE84: D3F30088 1E228582
	v_mfma_f32_16x16x32_fp8_fp8 v[136:139], a[132:133], a[68:69], v[136:139]// 00000000AE8C: D3F30088 1E228984
	ds_read_b128 a[16:19], v2 offset:15488                     // 00000000AE94: DBFE3C80 10000002
	ds_read_b128 a[20:23], v2 offset:15552                     // 00000000AE9C: DBFE3CC0 14000002
	v_mfma_f32_16x16x32_fp8_fp8 v[136:139], a[134:135], a[70:71], v[136:139]// 00000000AEA4: D3F30088 1E228D86
	v_mfma_f32_16x16x32_fp8_fp8 v[164:167], a[136:137], a[64:65], v[164:167]// 00000000AEAC: D3F300A4 1E928188
	buffer_load_dwordx4 a[124:127], v73, s[84:87], 0 offen offset:1024// 00000000AEB4: E05C1400 80957C49
	v_mfma_f32_16x16x32_fp8_fp8 v[164:167], a[138:139], a[66:67], v[164:167]// 00000000AEBC: D3F300A4 1E92858A
	v_mfma_f32_16x16x32_fp8_fp8 v[164:167], a[140:141], a[68:69], v[164:167]// 00000000AEC4: D3F300A4 1E92898C
	ds_read_b128 a[24:27], v2 offset:16000                     // 00000000AECC: DBFE3E80 18000002
	ds_read_b128 a[28:31], v2 offset:16064                     // 00000000AED4: DBFE3EC0 1C000002
	v_mfma_f32_16x16x32_fp8_fp8 v[164:167], a[142:143], a[70:71], v[164:167]// 00000000AEDC: D3F300A4 1E928D8E
	v_mfma_f32_16x16x32_fp8_fp8 v[140:143], a[128:129], a[72:73], v[140:143]// 00000000AEE4: D3F3008C 1E329180
	v_mfma_f32_16x16x32_fp8_fp8 v[140:143], a[130:131], a[74:75], v[140:143]// 00000000AEEC: D3F3008C 1E329582
	v_mfma_f32_16x16x32_fp8_fp8 v[140:143], a[132:133], a[76:77], v[140:143]// 00000000AEF4: D3F3008C 1E329984
	ds_read_b128 a[32:35], v2 offset:16512                     // 00000000AEFC: DBFE4080 20000002
	ds_read_b128 a[36:39], v2 offset:16576                     // 00000000AF04: DBFE40C0 24000002
	v_mfma_f32_16x16x32_fp8_fp8 v[140:143], a[134:135], a[78:79], v[140:143]// 00000000AF0C: D3F3008C 1E329D86
	v_mfma_f32_16x16x32_fp8_fp8 v[168:171], a[136:137], a[72:73], v[168:171]// 00000000AF14: D3F300A8 1EA29188
	v_mfma_f32_16x16x32_fp8_fp8 v[168:171], a[138:139], a[74:75], v[168:171]// 00000000AF1C: D3F300A8 1EA2958A
	v_mfma_f32_16x16x32_fp8_fp8 v[168:171], a[140:141], a[76:77], v[168:171]// 00000000AF24: D3F300A8 1EA2998C
	ds_read_b128 a[40:43], v2 offset:17024                     // 00000000AF2C: DBFE4280 28000002
	ds_read_b128 a[44:47], v2 offset:17088                     // 00000000AF34: DBFE42C0 2C000002
	v_mfma_f32_16x16x32_fp8_fp8 v[168:171], a[142:143], a[78:79], v[168:171]// 00000000AF3C: D3F300A8 1EA29D8E
	v_mfma_f32_16x16x32_fp8_fp8 v[144:147], a[128:129], a[80:81], v[144:147]// 00000000AF44: D3F30090 1E42A180
	v_mfma_f32_16x16x32_fp8_fp8 v[144:147], a[130:131], a[82:83], v[144:147]// 00000000AF4C: D3F30090 1E42A582
	v_mfma_f32_16x16x32_fp8_fp8 v[144:147], a[132:133], a[84:85], v[144:147]// 00000000AF54: D3F30090 1E42A984
	ds_read_b128 a[48:51], v2 offset:17536                     // 00000000AF5C: DBFE4480 30000002
	ds_read_b128 a[52:55], v2 offset:17600                     // 00000000AF64: DBFE44C0 34000002
	v_mfma_f32_16x16x32_fp8_fp8 v[144:147], a[134:135], a[86:87], v[144:147]// 00000000AF6C: D3F30090 1E42AD86
	v_mfma_f32_16x16x32_fp8_fp8 v[172:175], a[136:137], a[80:81], v[172:175]// 00000000AF74: D3F300AC 1EB2A188
	v_mfma_f32_16x16x32_fp8_fp8 v[172:175], a[138:139], a[82:83], v[172:175]// 00000000AF7C: D3F300AC 1EB2A58A
	v_mfma_f32_16x16x32_fp8_fp8 v[172:175], a[140:141], a[84:85], v[172:175]// 00000000AF84: D3F300AC 1EB2A98C
	v_mfma_f32_16x16x32_fp8_fp8 v[172:175], a[142:143], a[86:87], v[172:175]// 00000000AF8C: D3F300AC 1EB2AD8E
	v_mfma_f32_16x16x32_fp8_fp8 v[148:151], a[128:129], a[88:89], v[148:151]// 00000000AF94: D3F30094 1E52B180
	v_mfma_f32_16x16x32_fp8_fp8 v[148:151], a[130:131], a[90:91], v[148:151]// 00000000AF9C: D3F30094 1E52B582
	v_mfma_f32_16x16x32_fp8_fp8 v[148:151], a[132:133], a[92:93], v[148:151]// 00000000AFA4: D3F30094 1E52B984
	v_mfma_f32_16x16x32_fp8_fp8 v[148:151], a[134:135], a[94:95], v[148:151]// 00000000AFAC: D3F30094 1E52BD86
	v_mfma_f32_16x16x32_fp8_fp8 v[176:179], a[136:137], a[88:89], v[176:179]// 00000000AFB4: D3F300B0 1EC2B188
	v_mfma_f32_16x16x32_fp8_fp8 v[176:179], a[138:139], a[90:91], v[176:179]// 00000000AFBC: D3F300B0 1EC2B58A
	v_mfma_f32_16x16x32_fp8_fp8 v[176:179], a[140:141], a[92:93], v[176:179]// 00000000AFC4: D3F300B0 1EC2B98C
	v_mfma_f32_16x16x32_fp8_fp8 v[176:179], a[142:143], a[94:95], v[176:179]// 00000000AFCC: D3F300B0 1EC2BD8E
	v_mfma_f32_16x16x32_fp8_fp8 v[152:155], a[128:129], a[96:97], v[152:155]// 00000000AFD4: D3F30098 1E62C180
	v_mfma_f32_16x16x32_fp8_fp8 v[152:155], a[130:131], a[98:99], v[152:155]// 00000000AFDC: D3F30098 1E62C582
	v_mfma_f32_16x16x32_fp8_fp8 v[152:155], a[132:133], a[100:101], v[152:155]// 00000000AFE4: D3F30098 1E62C984
	v_mfma_f32_16x16x32_fp8_fp8 v[152:155], a[134:135], a[102:103], v[152:155]// 00000000AFEC: D3F30098 1E62CD86
	v_mfma_f32_16x16x32_fp8_fp8 v[180:183], a[136:137], a[96:97], v[180:183]// 00000000AFF4: D3F300B4 1ED2C188
	v_mfma_f32_16x16x32_fp8_fp8 v[180:183], a[138:139], a[98:99], v[180:183]// 00000000AFFC: D3F300B4 1ED2C58A
	v_mfma_f32_16x16x32_fp8_fp8 v[180:183], a[140:141], a[100:101], v[180:183]// 00000000B004: D3F300B4 1ED2C98C
	v_mfma_f32_16x16x32_fp8_fp8 v[180:183], a[142:143], a[102:103], v[180:183]// 00000000B00C: D3F300B4 1ED2CD8E
	v_mfma_f32_16x16x32_fp8_fp8 v[156:159], a[128:129], a[104:105], v[156:159]// 00000000B014: D3F3009C 1E72D180
	s_add_u32 s60, 0x180, s80                                  // 00000000B01C: 803C50FF 00000180
	s_cmp_lt_u32 s60, s81                                      // 00000000B024: BF0A513C
	s_cselect_b32 s57, s57, 0                                  // 00000000B028: 85398039
	v_mfma_f32_16x16x32_fp8_fp8 v[156:159], a[130:131], a[106:107], v[156:159]// 00000000B02C: D3F3009C 1E72D582
	s_add_u32 s60, 0x100, s80                                  // 00000000B034: 803C50FF 00000100
	s_cmp_lt_u32 s60, s81                                      // 00000000B03C: BF0A513C
	s_cselect_b32 s58, s58, 0                                  // 00000000B040: 853A803A
	v_mfma_f32_16x16x32_fp8_fp8 v[156:159], a[132:133], a[108:109], v[156:159]// 00000000B044: D3F3009C 1E72D984
	s_add_u32 s60, 0x100, s80                                  // 00000000B04C: 803C50FF 00000100
	s_cmp_lt_u32 s60, s81                                      // 00000000B054: BF0A513C
	s_cselect_b32 s83, s83, 0                                  // 00000000B058: 85538053
	v_mfma_f32_16x16x32_fp8_fp8 v[156:159], a[134:135], a[110:111], v[156:159]// 00000000B05C: D3F3009C 1E72DD86
	s_add_u32 s24, s58, s24                                    // 00000000B064: 8018183A
	s_addc_u32 s25, 0, s25                                     // 00000000B068: 82191980
	v_mfma_f32_16x16x32_fp8_fp8 v[184:187], a[136:137], a[104:105], v[184:187]// 00000000B06C: D3F300B8 1EE2D188
	s_add_u32 s20, s57, s20                                    // 00000000B074: 80141439
	s_addc_u32 s21, 0, s21                                     // 00000000B078: 82151580
	v_mfma_f32_16x16x32_fp8_fp8 v[184:187], a[138:139], a[106:107], v[184:187]// 00000000B07C: D3F300B8 1EE2D58A
	s_add_u32 s84, s83, s84                                    // 00000000B084: 80545453
	s_addc_u32 s85, 0, s85                                     // 00000000B088: 82555580
	v_mfma_f32_16x16x32_fp8_fp8 v[184:187], a[140:141], a[108:109], v[184:187]// 00000000B08C: D3F300B8 1EE2D98C
	v_mfma_f32_16x16x32_fp8_fp8 v[184:187], a[142:143], a[110:111], v[184:187]// 00000000B094: D3F300B8 1EE2DD8E
	s_addk_i32 s80, 0x80                                       // 00000000B09C: B7500080
	s_cmp_lt_i32 s80, s81                                      // 00000000B0A0: BF045150
	s_cbranch_scc0 label_2464                                  // 00000000B0A4: BF8402B7
	s_waitcnt vmcnt(18) lgkmcnt(0)                             // 00000000B0A8: BF8C4072
	v_mfma_f32_16x16x32_fp8_fp8 v[76:79], a[144:145], a[0:1], v[76:79]// 00000000B0AC: D3F3004C 1D320190
	buffer_load_dwordx4 a[128:131], v72, s[24:27], 0 offen     // 00000000B0B4: E05C1000 80868048
	v_mfma_f32_16x16x32_fp8_fp8 v[76:79], a[146:147], a[2:3], v[76:79]// 00000000B0BC: D3F3004C 1D320592
	v_mfma_f32_16x16x32_fp8_fp8 v[76:79], a[148:149], a[4:5], v[76:79]// 00000000B0C4: D3F3004C 1D320994
	v_mfma_f32_16x16x32_fp8_fp8 v[76:79], a[150:151], a[6:7], v[76:79]// 00000000B0CC: D3F3004C 1D320D96
	v_mfma_f32_16x16x32_fp8_fp8 v[104:107], a[152:153], a[0:1], v[104:107]// 00000000B0D4: D3F30068 1DA20198
	buffer_load_dwordx4 a[132:135], v72, s[24:27], 0 offen offset:1024// 00000000B0DC: E05C1400 80868448
	v_mfma_f32_16x16x32_fp8_fp8 v[104:107], a[154:155], a[2:3], v[104:107]// 00000000B0E4: D3F30068 1DA2059A
	v_mfma_f32_16x16x32_fp8_fp8 v[104:107], a[156:157], a[4:5], v[104:107]// 00000000B0EC: D3F30068 1DA2099C
	v_mfma_f32_16x16x32_fp8_fp8 v[104:107], a[158:159], a[6:7], v[104:107]// 00000000B0F4: D3F30068 1DA20D9E
	v_mfma_f32_16x16x32_fp8_fp8 v[80:83], a[144:145], a[8:9], v[80:83]// 00000000B0FC: D3F30050 1D421190
	buffer_load_dwordx4 a[136:139], v73, s[24:27], 0 offen     // 00000000B104: E05C1000 80868849
	v_mfma_f32_16x16x32_fp8_fp8 v[80:83], a[146:147], a[10:11], v[80:83]// 00000000B10C: D3F30050 1D421592
	v_mfma_f32_16x16x32_fp8_fp8 v[80:83], a[148:149], a[12:13], v[80:83]// 00000000B114: D3F30050 1D421994
	v_mfma_f32_16x16x32_fp8_fp8 v[80:83], a[150:151], a[14:15], v[80:83]// 00000000B11C: D3F30050 1D421D96
	v_mfma_f32_16x16x32_fp8_fp8 v[108:111], a[152:153], a[8:9], v[108:111]// 00000000B124: D3F3006C 1DB21198
	buffer_load_dwordx4 a[140:143], v73, s[24:27], 0 offen offset:1024// 00000000B12C: E05C1400 80868C49
	buffer_load_dword v58, s[20:23], 0 offen lds               // 00000000B134: E0511000 8005003A
	s_add_u32 m0, 0x100, s48                                   // 00000000B13C: 807C30FF 00000100
	v_mfma_f32_16x16x32_fp8_fp8 v[108:111], a[154:155], a[10:11], v[108:111]// 00000000B144: D3F3006C 1DB2159A
	v_mfma_f32_16x16x32_fp8_fp8 v[108:111], a[156:157], a[12:13], v[108:111]// 00000000B14C: D3F3006C 1DB2199C
	buffer_load_dword v59, s[20:23], 0 offen lds               // 00000000B154: E0511000 8005003B
	s_add_u32 m0, 0x200, s48                                   // 00000000B15C: 807C30FF 00000200
	v_mfma_f32_16x16x32_fp8_fp8 v[108:111], a[158:159], a[14:15], v[108:111]// 00000000B164: D3F3006C 1DB21D9E
	v_mfma_f32_16x16x32_fp8_fp8 v[84:87], a[144:145], a[16:17], v[84:87]// 00000000B16C: D3F30054 1D522190
	buffer_load_dword v60, s[20:23], 0 offen lds               // 00000000B174: E0511000 8005003C
	s_add_u32 m0, 0x300, s48                                   // 00000000B17C: 807C30FF 00000300
	v_mfma_f32_16x16x32_fp8_fp8 v[84:87], a[146:147], a[18:19], v[84:87]// 00000000B184: D3F30054 1D522592
	v_mfma_f32_16x16x32_fp8_fp8 v[84:87], a[148:149], a[20:21], v[84:87]// 00000000B18C: D3F30054 1D522994
	buffer_load_dword v61, s[20:23], 0 offen lds               // 00000000B194: E0511000 8005003D
	s_add_u32 m0, 0x400, s48                                   // 00000000B19C: 807C30FF 00000400
	v_mfma_f32_16x16x32_fp8_fp8 v[84:87], a[150:151], a[22:23], v[84:87]// 00000000B1A4: D3F30054 1D522D96
	v_mfma_f32_16x16x32_fp8_fp8 v[112:115], a[152:153], a[16:17], v[112:115]// 00000000B1AC: D3F30070 1DC22198
	buffer_load_dword v62, s[20:23], 0 offen lds               // 00000000B1B4: E0511000 8005003E
	s_add_u32 m0, 0x500, s48                                   // 00000000B1BC: 807C30FF 00000500
	v_mfma_f32_16x16x32_fp8_fp8 v[112:115], a[154:155], a[18:19], v[112:115]// 00000000B1C4: D3F30070 1DC2259A
	v_mfma_f32_16x16x32_fp8_fp8 v[112:115], a[156:157], a[20:21], v[112:115]// 00000000B1CC: D3F30070 1DC2299C
	buffer_load_dword v63, s[20:23], 0 offen lds               // 00000000B1D4: E0511000 8005003F
	s_add_u32 m0, 0x600, s48                                   // 00000000B1DC: 807C30FF 00000600
	v_mfma_f32_16x16x32_fp8_fp8 v[112:115], a[158:159], a[22:23], v[112:115]// 00000000B1E4: D3F30070 1DC22D9E
	v_mfma_f32_16x16x32_fp8_fp8 v[88:91], a[144:145], a[24:25], v[88:91]// 00000000B1EC: D3F30058 1D623190
	buffer_load_dword v64, s[20:23], 0 offen lds               // 00000000B1F4: E0511000 80050040
	s_add_u32 m0, 0x700, s48                                   // 00000000B1FC: 807C30FF 00000700
	v_mfma_f32_16x16x32_fp8_fp8 v[88:91], a[146:147], a[26:27], v[88:91]// 00000000B204: D3F30058 1D623592
	v_mfma_f32_16x16x32_fp8_fp8 v[88:91], a[148:149], a[28:29], v[88:91]// 00000000B20C: D3F30058 1D623994
	buffer_load_dword v65, s[20:23], 0 offen lds               // 00000000B214: E0511000 80050041
	s_add_u32 m0, 0x800, s48                                   // 00000000B21C: 807C30FF 00000800
	v_mfma_f32_16x16x32_fp8_fp8 v[88:91], a[150:151], a[30:31], v[88:91]// 00000000B224: D3F30058 1D623D96
	v_mfma_f32_16x16x32_fp8_fp8 v[116:119], a[152:153], a[24:25], v[116:119]// 00000000B22C: D3F30074 1DD23198
	buffer_load_dword v66, s[20:23], 0 offen lds               // 00000000B234: E0511000 80050042
	s_add_u32 m0, 0x900, s48                                   // 00000000B23C: 807C30FF 00000900
	v_mfma_f32_16x16x32_fp8_fp8 v[116:119], a[154:155], a[26:27], v[116:119]// 00000000B244: D3F30074 1DD2359A
	v_mfma_f32_16x16x32_fp8_fp8 v[116:119], a[156:157], a[28:29], v[116:119]// 00000000B24C: D3F30074 1DD2399C
	buffer_load_dword v67, s[20:23], 0 offen lds               // 00000000B254: E0511000 80050043
	s_add_u32 m0, 0xa00, s48                                   // 00000000B25C: 807C30FF 00000A00
	v_mfma_f32_16x16x32_fp8_fp8 v[116:119], a[158:159], a[30:31], v[116:119]// 00000000B264: D3F30074 1DD23D9E
	v_mfma_f32_16x16x32_fp8_fp8 v[92:95], a[144:145], a[32:33], v[92:95]// 00000000B26C: D3F3005C 1D724190
	buffer_load_dword v68, s[20:23], 0 offen lds               // 00000000B274: E0511000 80050044
	s_add_u32 m0, 0xb00, s48                                   // 00000000B27C: 807C30FF 00000B00
	v_mfma_f32_16x16x32_fp8_fp8 v[92:95], a[146:147], a[34:35], v[92:95]// 00000000B284: D3F3005C 1D724592
	v_mfma_f32_16x16x32_fp8_fp8 v[92:95], a[148:149], a[36:37], v[92:95]// 00000000B28C: D3F3005C 1D724994
	buffer_load_dword v69, s[20:23], 0 offen lds               // 00000000B294: E0511000 80050045
	s_add_u32 m0, 0xc00, s48                                   // 00000000B29C: 807C30FF 00000C00
	v_mfma_f32_16x16x32_fp8_fp8 v[92:95], a[150:151], a[38:39], v[92:95]// 00000000B2A4: D3F3005C 1D724D96
	v_mfma_f32_16x16x32_fp8_fp8 v[120:123], a[152:153], a[32:33], v[120:123]// 00000000B2AC: D3F30078 1DE24198
	buffer_load_dword v70, s[20:23], 0 offen lds               // 00000000B2B4: E0511000 80050046
	s_add_u32 m0, 0xd00, s48                                   // 00000000B2BC: 807C30FF 00000D00
	v_mfma_f32_16x16x32_fp8_fp8 v[120:123], a[154:155], a[34:35], v[120:123]// 00000000B2C4: D3F30078 1DE2459A
	v_mfma_f32_16x16x32_fp8_fp8 v[120:123], a[156:157], a[36:37], v[120:123]// 00000000B2CC: D3F30078 1DE2499C
	buffer_load_dword v71, s[20:23], 0 offen lds               // 00000000B2D4: E0511000 80050047
	s_add_u32 m0, 0, s49                                       // 00000000B2DC: 807C3180
	v_mfma_f32_16x16x32_fp8_fp8 v[120:123], a[158:159], a[38:39], v[120:123]// 00000000B2E0: D3F30078 1DE24D9E
	v_mfma_f32_16x16x32_fp8_fp8 v[96:99], a[144:145], a[40:41], v[96:99]// 00000000B2E8: D3F30060 1D825190
	v_mfma_f32_16x16x32_fp8_fp8 v[96:99], a[146:147], a[42:43], v[96:99]// 00000000B2F0: D3F30060 1D825592
	v_mfma_f32_16x16x32_fp8_fp8 v[96:99], a[148:149], a[44:45], v[96:99]// 00000000B2F8: D3F30060 1D825994
	v_mfma_f32_16x16x32_fp8_fp8 v[96:99], a[150:151], a[46:47], v[96:99]// 00000000B300: D3F30060 1D825D96
	v_mfma_f32_16x16x32_fp8_fp8 v[124:127], a[152:153], a[40:41], v[124:127]// 00000000B308: D3F3007C 1DF25198
	v_mfma_f32_16x16x32_fp8_fp8 v[124:127], a[154:155], a[42:43], v[124:127]// 00000000B310: D3F3007C 1DF2559A
	v_mfma_f32_16x16x32_fp8_fp8 v[124:127], a[156:157], a[44:45], v[124:127]// 00000000B318: D3F3007C 1DF2599C
	v_mfma_f32_16x16x32_fp8_fp8 v[124:127], a[158:159], a[46:47], v[124:127]// 00000000B320: D3F3007C 1DF25D9E
	v_mfma_f32_16x16x32_fp8_fp8 v[100:103], a[144:145], a[48:49], v[100:103]// 00000000B328: D3F30064 1D926190
	v_mfma_f32_16x16x32_fp8_fp8 v[100:103], a[146:147], a[50:51], v[100:103]// 00000000B330: D3F30064 1D926592
	v_mfma_f32_16x16x32_fp8_fp8 v[100:103], a[148:149], a[52:53], v[100:103]// 00000000B338: D3F30064 1D926994
	v_mfma_f32_16x16x32_fp8_fp8 v[100:103], a[150:151], a[54:55], v[100:103]// 00000000B340: D3F30064 1D926D96
	v_mfma_f32_16x16x32_fp8_fp8 v[128:131], a[152:153], a[48:49], v[128:131]// 00000000B348: D3F30080 1E026198
	v_mfma_f32_16x16x32_fp8_fp8 v[128:131], a[154:155], a[50:51], v[128:131]// 00000000B350: D3F30080 1E02659A
	v_mfma_f32_16x16x32_fp8_fp8 v[128:131], a[156:157], a[52:53], v[128:131]// 00000000B358: D3F30080 1E02699C
	v_mfma_f32_16x16x32_fp8_fp8 v[128:131], a[158:159], a[54:55], v[128:131]// 00000000B360: D3F30080 1E026D9E
	s_waitcnt vmcnt(18)                                        // 00000000B368: BF8C4F72
	s_barrier                                                  // 00000000B36C: BF8A0000
	v_mfma_f32_16x16x32_fp8_fp8 v[132:135], a[112:113], a[0:1], v[132:135]// 00000000B370: D3F30084 1E120170
	buffer_load_dwordx4 a[144:147], v72, s[84:87], 0 offen     // 00000000B378: E05C1000 80959048
	v_mfma_f32_16x16x32_fp8_fp8 v[132:135], a[114:115], a[2:3], v[132:135]// 00000000B380: D3F30084 1E120572
	v_mfma_f32_16x16x32_fp8_fp8 v[132:135], a[116:117], a[4:5], v[132:135]// 00000000B388: D3F30084 1E120974
	ds_read_b128 a[56:59], v2 offset:28928                     // 00000000B390: DBFE7100 38000002
	ds_read_b128 a[60:63], v2 offset:28992                     // 00000000B398: DBFE7140 3C000002
	v_mfma_f32_16x16x32_fp8_fp8 v[132:135], a[118:119], a[6:7], v[132:135]// 00000000B3A0: D3F30084 1E120D76
	v_mfma_f32_16x16x32_fp8_fp8 v[160:163], a[120:121], a[0:1], v[160:163]// 00000000B3A8: D3F300A0 1E820178
	buffer_load_dwordx4 a[148:151], v72, s[84:87], 0 offen offset:1024// 00000000B3B0: E05C1400 80959448
	v_mfma_f32_16x16x32_fp8_fp8 v[160:163], a[122:123], a[2:3], v[160:163]// 00000000B3B8: D3F300A0 1E82057A
	v_mfma_f32_16x16x32_fp8_fp8 v[160:163], a[124:125], a[4:5], v[160:163]// 00000000B3C0: D3F300A0 1E82097C
	ds_read_b128 a[64:67], v2 offset:29440                     // 00000000B3C8: DBFE7300 40000002
	ds_read_b128 a[68:71], v2 offset:29504                     // 00000000B3D0: DBFE7340 44000002
	v_mfma_f32_16x16x32_fp8_fp8 v[160:163], a[126:127], a[6:7], v[160:163]// 00000000B3D8: D3F300A0 1E820D7E
	v_mfma_f32_16x16x32_fp8_fp8 v[136:139], a[112:113], a[8:9], v[136:139]// 00000000B3E0: D3F30088 1E221170
	buffer_load_dwordx4 a[152:155], v73, s[84:87], 0 offen     // 00000000B3E8: E05C1000 80959849
	v_mfma_f32_16x16x32_fp8_fp8 v[136:139], a[114:115], a[10:11], v[136:139]// 00000000B3F0: D3F30088 1E221572
	v_mfma_f32_16x16x32_fp8_fp8 v[136:139], a[116:117], a[12:13], v[136:139]// 00000000B3F8: D3F30088 1E221974
	ds_read_b128 a[72:75], v2 offset:29952                     // 00000000B400: DBFE7500 48000002
	ds_read_b128 a[76:79], v2 offset:30016                     // 00000000B408: DBFE7540 4C000002
	v_mfma_f32_16x16x32_fp8_fp8 v[136:139], a[118:119], a[14:15], v[136:139]// 00000000B410: D3F30088 1E221D76
	v_mfma_f32_16x16x32_fp8_fp8 v[164:167], a[120:121], a[8:9], v[164:167]// 00000000B418: D3F300A4 1E921178
	buffer_load_dwordx4 a[156:159], v73, s[84:87], 0 offen offset:1024// 00000000B420: E05C1400 80959C49
	v_mfma_f32_16x16x32_fp8_fp8 v[164:167], a[122:123], a[10:11], v[164:167]// 00000000B428: D3F300A4 1E92157A
	v_mfma_f32_16x16x32_fp8_fp8 v[164:167], a[124:125], a[12:13], v[164:167]// 00000000B430: D3F300A4 1E92197C
	ds_read_b128 a[80:83], v2 offset:30464                     // 00000000B438: DBFE7700 50000002
	ds_read_b128 a[84:87], v2 offset:30528                     // 00000000B440: DBFE7740 54000002
	v_mfma_f32_16x16x32_fp8_fp8 v[164:167], a[126:127], a[14:15], v[164:167]// 00000000B448: D3F300A4 1E921D7E
	v_mfma_f32_16x16x32_fp8_fp8 v[140:143], a[112:113], a[16:17], v[140:143]// 00000000B450: D3F3008C 1E322170
	v_mfma_f32_16x16x32_fp8_fp8 v[140:143], a[114:115], a[18:19], v[140:143]// 00000000B458: D3F3008C 1E322572
	v_mfma_f32_16x16x32_fp8_fp8 v[140:143], a[116:117], a[20:21], v[140:143]// 00000000B460: D3F3008C 1E322974
	ds_read_b128 a[88:91], v2 offset:30976                     // 00000000B468: DBFE7900 58000002
	ds_read_b128 a[92:95], v2 offset:31040                     // 00000000B470: DBFE7940 5C000002
	v_mfma_f32_16x16x32_fp8_fp8 v[140:143], a[118:119], a[22:23], v[140:143]// 00000000B478: D3F3008C 1E322D76
	v_mfma_f32_16x16x32_fp8_fp8 v[168:171], a[120:121], a[16:17], v[168:171]// 00000000B480: D3F300A8 1EA22178
	v_mfma_f32_16x16x32_fp8_fp8 v[168:171], a[122:123], a[18:19], v[168:171]// 00000000B488: D3F300A8 1EA2257A
	v_mfma_f32_16x16x32_fp8_fp8 v[168:171], a[124:125], a[20:21], v[168:171]// 00000000B490: D3F300A8 1EA2297C
	ds_read_b128 a[96:99], v2 offset:31488                     // 00000000B498: DBFE7B00 60000002
	ds_read_b128 a[100:103], v2 offset:31552                   // 00000000B4A0: DBFE7B40 64000002
	v_mfma_f32_16x16x32_fp8_fp8 v[168:171], a[126:127], a[22:23], v[168:171]// 00000000B4A8: D3F300A8 1EA22D7E
	v_mfma_f32_16x16x32_fp8_fp8 v[144:147], a[112:113], a[24:25], v[144:147]// 00000000B4B0: D3F30090 1E423170
	v_mfma_f32_16x16x32_fp8_fp8 v[144:147], a[114:115], a[26:27], v[144:147]// 00000000B4B8: D3F30090 1E423572
	v_mfma_f32_16x16x32_fp8_fp8 v[144:147], a[116:117], a[28:29], v[144:147]// 00000000B4C0: D3F30090 1E423974
	ds_read_b128 a[104:107], v2 offset:32000                   // 00000000B4C8: DBFE7D00 68000002
	ds_read_b128 a[108:111], v2 offset:32064                   // 00000000B4D0: DBFE7D40 6C000002
	v_mfma_f32_16x16x32_fp8_fp8 v[144:147], a[118:119], a[30:31], v[144:147]// 00000000B4D8: D3F30090 1E423D76
	v_mfma_f32_16x16x32_fp8_fp8 v[172:175], a[120:121], a[24:25], v[172:175]// 00000000B4E0: D3F300AC 1EB23178
	v_mfma_f32_16x16x32_fp8_fp8 v[172:175], a[122:123], a[26:27], v[172:175]// 00000000B4E8: D3F300AC 1EB2357A
	v_mfma_f32_16x16x32_fp8_fp8 v[172:175], a[124:125], a[28:29], v[172:175]// 00000000B4F0: D3F300AC 1EB2397C
	v_mfma_f32_16x16x32_fp8_fp8 v[172:175], a[126:127], a[30:31], v[172:175]// 00000000B4F8: D3F300AC 1EB23D7E
	v_mfma_f32_16x16x32_fp8_fp8 v[148:151], a[112:113], a[32:33], v[148:151]// 00000000B500: D3F30094 1E524170
	v_mfma_f32_16x16x32_fp8_fp8 v[148:151], a[114:115], a[34:35], v[148:151]// 00000000B508: D3F30094 1E524572
	v_mfma_f32_16x16x32_fp8_fp8 v[148:151], a[116:117], a[36:37], v[148:151]// 00000000B510: D3F30094 1E524974
	v_mfma_f32_16x16x32_fp8_fp8 v[148:151], a[118:119], a[38:39], v[148:151]// 00000000B518: D3F30094 1E524D76
	v_mfma_f32_16x16x32_fp8_fp8 v[176:179], a[120:121], a[32:33], v[176:179]// 00000000B520: D3F300B0 1EC24178
	v_mfma_f32_16x16x32_fp8_fp8 v[176:179], a[122:123], a[34:35], v[176:179]// 00000000B528: D3F300B0 1EC2457A
	v_mfma_f32_16x16x32_fp8_fp8 v[176:179], a[124:125], a[36:37], v[176:179]// 00000000B530: D3F300B0 1EC2497C
	v_mfma_f32_16x16x32_fp8_fp8 v[176:179], a[126:127], a[38:39], v[176:179]// 00000000B538: D3F300B0 1EC24D7E
	v_mfma_f32_16x16x32_fp8_fp8 v[152:155], a[112:113], a[40:41], v[152:155]// 00000000B540: D3F30098 1E625170
	v_mfma_f32_16x16x32_fp8_fp8 v[152:155], a[114:115], a[42:43], v[152:155]// 00000000B548: D3F30098 1E625572
	v_mfma_f32_16x16x32_fp8_fp8 v[152:155], a[116:117], a[44:45], v[152:155]// 00000000B550: D3F30098 1E625974
	v_mfma_f32_16x16x32_fp8_fp8 v[152:155], a[118:119], a[46:47], v[152:155]// 00000000B558: D3F30098 1E625D76
	v_mfma_f32_16x16x32_fp8_fp8 v[180:183], a[120:121], a[40:41], v[180:183]// 00000000B560: D3F300B4 1ED25178
	v_mfma_f32_16x16x32_fp8_fp8 v[180:183], a[122:123], a[42:43], v[180:183]// 00000000B568: D3F300B4 1ED2557A
	v_mfma_f32_16x16x32_fp8_fp8 v[180:183], a[124:125], a[44:45], v[180:183]// 00000000B570: D3F300B4 1ED2597C
	v_mfma_f32_16x16x32_fp8_fp8 v[180:183], a[126:127], a[46:47], v[180:183]// 00000000B578: D3F300B4 1ED25D7E
	v_mfma_f32_16x16x32_fp8_fp8 v[156:159], a[112:113], a[48:49], v[156:159]// 00000000B580: D3F3009C 1E726170
	s_add_u32 s60, 0x180, s80                                  // 00000000B588: 803C50FF 00000180
	s_cmp_lt_u32 s60, s81                                      // 00000000B590: BF0A513C
	s_cselect_b32 s57, s57, 0                                  // 00000000B594: 85398039
	v_mfma_f32_16x16x32_fp8_fp8 v[156:159], a[114:115], a[50:51], v[156:159]// 00000000B598: D3F3009C 1E726572
	s_add_u32 s60, 0x100, s80                                  // 00000000B5A0: 803C50FF 00000100
	s_cmp_lt_u32 s60, s81                                      // 00000000B5A8: BF0A513C
	s_cselect_b32 s58, s58, 0                                  // 00000000B5AC: 853A803A
	v_mfma_f32_16x16x32_fp8_fp8 v[156:159], a[116:117], a[52:53], v[156:159]// 00000000B5B0: D3F3009C 1E726974
	s_add_u32 s60, 0x100, s80                                  // 00000000B5B8: 803C50FF 00000100
	s_cmp_lt_u32 s60, s81                                      // 00000000B5C0: BF0A513C
	s_cselect_b32 s83, s83, 0                                  // 00000000B5C4: 85538053
	v_mfma_f32_16x16x32_fp8_fp8 v[156:159], a[118:119], a[54:55], v[156:159]// 00000000B5C8: D3F3009C 1E726D76
	s_add_u32 s24, s58, s24                                    // 00000000B5D0: 8018183A
	s_addc_u32 s25, 0, s25                                     // 00000000B5D4: 82191980
	v_mfma_f32_16x16x32_fp8_fp8 v[184:187], a[120:121], a[48:49], v[184:187]// 00000000B5D8: D3F300B8 1EE26178
	s_add_u32 s20, s57, s20                                    // 00000000B5E0: 80141439
	s_addc_u32 s21, 0, s21                                     // 00000000B5E4: 82151580
	v_mfma_f32_16x16x32_fp8_fp8 v[184:187], a[122:123], a[50:51], v[184:187]// 00000000B5E8: D3F300B8 1EE2657A
	s_add_u32 s84, s83, s84                                    // 00000000B5F0: 80545453
	s_addc_u32 s85, 0, s85                                     // 00000000B5F4: 82555580
	v_mfma_f32_16x16x32_fp8_fp8 v[184:187], a[124:125], a[52:53], v[184:187]// 00000000B5F8: D3F300B8 1EE2697C
	v_mfma_f32_16x16x32_fp8_fp8 v[184:187], a[126:127], a[54:55], v[184:187]// 00000000B600: D3F300B8 1EE26D7E
	s_addk_i32 s80, 0x80                                       // 00000000B608: B7500080
	s_cmp_lt_i32 s80, s81                                      // 00000000B60C: BF045150
	s_cbranch_scc0 label_2464                                  // 00000000B610: BF84015C
	s_waitcnt vmcnt(18) lgkmcnt(0)                             // 00000000B614: BF8C4072
	v_mfma_f32_16x16x32_fp8_fp8 v[76:79], a[128:129], a[56:57], v[76:79]// 00000000B618: D3F3004C 1D327180
	buffer_load_dwordx4 a[112:115], v72, s[24:27], 0 offen     // 00000000B620: E05C1000 80867048
	v_mfma_f32_16x16x32_fp8_fp8 v[76:79], a[130:131], a[58:59], v[76:79]// 00000000B628: D3F3004C 1D327582
	v_mfma_f32_16x16x32_fp8_fp8 v[76:79], a[132:133], a[60:61], v[76:79]// 00000000B630: D3F3004C 1D327984
	v_mfma_f32_16x16x32_fp8_fp8 v[76:79], a[134:135], a[62:63], v[76:79]// 00000000B638: D3F3004C 1D327D86
	v_mfma_f32_16x16x32_fp8_fp8 v[104:107], a[136:137], a[56:57], v[104:107]// 00000000B640: D3F30068 1DA27188
	buffer_load_dwordx4 a[116:119], v72, s[24:27], 0 offen offset:1024// 00000000B648: E05C1400 80867448
	v_mfma_f32_16x16x32_fp8_fp8 v[104:107], a[138:139], a[58:59], v[104:107]// 00000000B650: D3F30068 1DA2758A
	v_mfma_f32_16x16x32_fp8_fp8 v[104:107], a[140:141], a[60:61], v[104:107]// 00000000B658: D3F30068 1DA2798C
	v_mfma_f32_16x16x32_fp8_fp8 v[104:107], a[142:143], a[62:63], v[104:107]// 00000000B660: D3F30068 1DA27D8E
	v_mfma_f32_16x16x32_fp8_fp8 v[80:83], a[128:129], a[64:65], v[80:83]// 00000000B668: D3F30050 1D428180
	buffer_load_dwordx4 a[120:123], v73, s[24:27], 0 offen     // 00000000B670: E05C1000 80867849
	v_mfma_f32_16x16x32_fp8_fp8 v[80:83], a[130:131], a[66:67], v[80:83]// 00000000B678: D3F30050 1D428582
	v_mfma_f32_16x16x32_fp8_fp8 v[80:83], a[132:133], a[68:69], v[80:83]// 00000000B680: D3F30050 1D428984
	v_mfma_f32_16x16x32_fp8_fp8 v[80:83], a[134:135], a[70:71], v[80:83]// 00000000B688: D3F30050 1D428D86
	v_mfma_f32_16x16x32_fp8_fp8 v[108:111], a[136:137], a[64:65], v[108:111]// 00000000B690: D3F3006C 1DB28188
	buffer_load_dwordx4 a[124:127], v73, s[24:27], 0 offen offset:1024// 00000000B698: E05C1400 80867C49
	buffer_load_dword v58, s[20:23], 0 offen lds               // 00000000B6A0: E0511000 8005003A
	s_add_u32 m0, 0x100, s49                                   // 00000000B6A8: 807C31FF 00000100
	v_mfma_f32_16x16x32_fp8_fp8 v[108:111], a[138:139], a[66:67], v[108:111]// 00000000B6B0: D3F3006C 1DB2858A
	v_mfma_f32_16x16x32_fp8_fp8 v[108:111], a[140:141], a[68:69], v[108:111]// 00000000B6B8: D3F3006C 1DB2898C
	buffer_load_dword v59, s[20:23], 0 offen lds               // 00000000B6C0: E0511000 8005003B
	s_add_u32 m0, 0x200, s49                                   // 00000000B6C8: 807C31FF 00000200
	v_mfma_f32_16x16x32_fp8_fp8 v[108:111], a[142:143], a[70:71], v[108:111]// 00000000B6D0: D3F3006C 1DB28D8E
	v_mfma_f32_16x16x32_fp8_fp8 v[84:87], a[128:129], a[72:73], v[84:87]// 00000000B6D8: D3F30054 1D529180
	buffer_load_dword v60, s[20:23], 0 offen lds               // 00000000B6E0: E0511000 8005003C
	s_add_u32 m0, 0x300, s49                                   // 00000000B6E8: 807C31FF 00000300
	v_mfma_f32_16x16x32_fp8_fp8 v[84:87], a[130:131], a[74:75], v[84:87]// 00000000B6F0: D3F30054 1D529582
	v_mfma_f32_16x16x32_fp8_fp8 v[84:87], a[132:133], a[76:77], v[84:87]// 00000000B6F8: D3F30054 1D529984
	buffer_load_dword v61, s[20:23], 0 offen lds               // 00000000B700: E0511000 8005003D
	s_add_u32 m0, 0x400, s49                                   // 00000000B708: 807C31FF 00000400
	v_mfma_f32_16x16x32_fp8_fp8 v[84:87], a[134:135], a[78:79], v[84:87]// 00000000B710: D3F30054 1D529D86
	v_mfma_f32_16x16x32_fp8_fp8 v[112:115], a[136:137], a[72:73], v[112:115]// 00000000B718: D3F30070 1DC29188
	buffer_load_dword v62, s[20:23], 0 offen lds               // 00000000B720: E0511000 8005003E
	s_add_u32 m0, 0x500, s49                                   // 00000000B728: 807C31FF 00000500
	v_mfma_f32_16x16x32_fp8_fp8 v[112:115], a[138:139], a[74:75], v[112:115]// 00000000B730: D3F30070 1DC2958A
	v_mfma_f32_16x16x32_fp8_fp8 v[112:115], a[140:141], a[76:77], v[112:115]// 00000000B738: D3F30070 1DC2998C
	buffer_load_dword v63, s[20:23], 0 offen lds               // 00000000B740: E0511000 8005003F
	s_add_u32 m0, 0x600, s49                                   // 00000000B748: 807C31FF 00000600
	v_mfma_f32_16x16x32_fp8_fp8 v[112:115], a[142:143], a[78:79], v[112:115]// 00000000B750: D3F30070 1DC29D8E
	v_mfma_f32_16x16x32_fp8_fp8 v[88:91], a[128:129], a[80:81], v[88:91]// 00000000B758: D3F30058 1D62A180
	buffer_load_dword v64, s[20:23], 0 offen lds               // 00000000B760: E0511000 80050040
	s_add_u32 m0, 0x700, s49                                   // 00000000B768: 807C31FF 00000700
	v_mfma_f32_16x16x32_fp8_fp8 v[88:91], a[130:131], a[82:83], v[88:91]// 00000000B770: D3F30058 1D62A582
	v_mfma_f32_16x16x32_fp8_fp8 v[88:91], a[132:133], a[84:85], v[88:91]// 00000000B778: D3F30058 1D62A984
	buffer_load_dword v65, s[20:23], 0 offen lds               // 00000000B780: E0511000 80050041
	s_add_u32 m0, 0x800, s49                                   // 00000000B788: 807C31FF 00000800
	v_mfma_f32_16x16x32_fp8_fp8 v[88:91], a[134:135], a[86:87], v[88:91]// 00000000B790: D3F30058 1D62AD86
	v_mfma_f32_16x16x32_fp8_fp8 v[116:119], a[136:137], a[80:81], v[116:119]// 00000000B798: D3F30074 1DD2A188
	buffer_load_dword v66, s[20:23], 0 offen lds               // 00000000B7A0: E0511000 80050042
	s_add_u32 m0, 0x900, s49                                   // 00000000B7A8: 807C31FF 00000900
	v_mfma_f32_16x16x32_fp8_fp8 v[116:119], a[138:139], a[82:83], v[116:119]// 00000000B7B0: D3F30074 1DD2A58A
	v_mfma_f32_16x16x32_fp8_fp8 v[116:119], a[140:141], a[84:85], v[116:119]// 00000000B7B8: D3F30074 1DD2A98C
	buffer_load_dword v67, s[20:23], 0 offen lds               // 00000000B7C0: E0511000 80050043
	s_add_u32 m0, 0xa00, s49                                   // 00000000B7C8: 807C31FF 00000A00
	v_mfma_f32_16x16x32_fp8_fp8 v[116:119], a[142:143], a[86:87], v[116:119]// 00000000B7D0: D3F30074 1DD2AD8E
	v_mfma_f32_16x16x32_fp8_fp8 v[92:95], a[128:129], a[88:89], v[92:95]// 00000000B7D8: D3F3005C 1D72B180
	buffer_load_dword v68, s[20:23], 0 offen lds               // 00000000B7E0: E0511000 80050044
	s_add_u32 m0, 0xb00, s49                                   // 00000000B7E8: 807C31FF 00000B00
	v_mfma_f32_16x16x32_fp8_fp8 v[92:95], a[130:131], a[90:91], v[92:95]// 00000000B7F0: D3F3005C 1D72B582
	v_mfma_f32_16x16x32_fp8_fp8 v[92:95], a[132:133], a[92:93], v[92:95]// 00000000B7F8: D3F3005C 1D72B984
	buffer_load_dword v69, s[20:23], 0 offen lds               // 00000000B800: E0511000 80050045
	s_add_u32 m0, 0xc00, s49                                   // 00000000B808: 807C31FF 00000C00
	v_mfma_f32_16x16x32_fp8_fp8 v[92:95], a[134:135], a[94:95], v[92:95]// 00000000B810: D3F3005C 1D72BD86
	v_mfma_f32_16x16x32_fp8_fp8 v[120:123], a[136:137], a[88:89], v[120:123]// 00000000B818: D3F30078 1DE2B188
	buffer_load_dword v70, s[20:23], 0 offen lds               // 00000000B820: E0511000 80050046
	s_add_u32 m0, 0xd00, s49                                   // 00000000B828: 807C31FF 00000D00
	v_mfma_f32_16x16x32_fp8_fp8 v[120:123], a[138:139], a[90:91], v[120:123]// 00000000B830: D3F30078 1DE2B58A
	v_mfma_f32_16x16x32_fp8_fp8 v[120:123], a[140:141], a[92:93], v[120:123]// 00000000B838: D3F30078 1DE2B98C
	buffer_load_dword v71, s[20:23], 0 offen lds               // 00000000B840: E0511000 80050047
	s_add_u32 m0, 0, s50                                       // 00000000B848: 807C3280
	v_mfma_f32_16x16x32_fp8_fp8 v[120:123], a[142:143], a[94:95], v[120:123]// 00000000B84C: D3F30078 1DE2BD8E
	v_mfma_f32_16x16x32_fp8_fp8 v[96:99], a[128:129], a[96:97], v[96:99]// 00000000B854: D3F30060 1D82C180
	v_mfma_f32_16x16x32_fp8_fp8 v[96:99], a[130:131], a[98:99], v[96:99]// 00000000B85C: D3F30060 1D82C582
	v_mfma_f32_16x16x32_fp8_fp8 v[96:99], a[132:133], a[100:101], v[96:99]// 00000000B864: D3F30060 1D82C984
	v_mfma_f32_16x16x32_fp8_fp8 v[96:99], a[134:135], a[102:103], v[96:99]// 00000000B86C: D3F30060 1D82CD86
	v_mfma_f32_16x16x32_fp8_fp8 v[124:127], a[136:137], a[96:97], v[124:127]// 00000000B874: D3F3007C 1DF2C188
	v_mfma_f32_16x16x32_fp8_fp8 v[124:127], a[138:139], a[98:99], v[124:127]// 00000000B87C: D3F3007C 1DF2C58A
	v_mfma_f32_16x16x32_fp8_fp8 v[124:127], a[140:141], a[100:101], v[124:127]// 00000000B884: D3F3007C 1DF2C98C
	v_mfma_f32_16x16x32_fp8_fp8 v[124:127], a[142:143], a[102:103], v[124:127]// 00000000B88C: D3F3007C 1DF2CD8E
	v_mfma_f32_16x16x32_fp8_fp8 v[100:103], a[128:129], a[104:105], v[100:103]// 00000000B894: D3F30064 1D92D180
	v_mfma_f32_16x16x32_fp8_fp8 v[100:103], a[130:131], a[106:107], v[100:103]// 00000000B89C: D3F30064 1D92D582
	v_mfma_f32_16x16x32_fp8_fp8 v[100:103], a[132:133], a[108:109], v[100:103]// 00000000B8A4: D3F30064 1D92D984
	v_mfma_f32_16x16x32_fp8_fp8 v[100:103], a[134:135], a[110:111], v[100:103]// 00000000B8AC: D3F30064 1D92DD86
	v_mfma_f32_16x16x32_fp8_fp8 v[128:131], a[136:137], a[104:105], v[128:131]// 00000000B8B4: D3F30080 1E02D188
	v_mfma_f32_16x16x32_fp8_fp8 v[128:131], a[138:139], a[106:107], v[128:131]// 00000000B8BC: D3F30080 1E02D58A
	v_mfma_f32_16x16x32_fp8_fp8 v[128:131], a[140:141], a[108:109], v[128:131]// 00000000B8C4: D3F30080 1E02D98C
	v_mfma_f32_16x16x32_fp8_fp8 v[128:131], a[142:143], a[110:111], v[128:131]// 00000000B8CC: D3F30080 1E02DD8E
	s_waitcnt vmcnt(18)                                        // 00000000B8D4: BF8C4F72
	s_barrier                                                  // 00000000B8D8: BF8A0000
	v_mfma_f32_16x16x32_fp8_fp8 v[132:135], a[144:145], a[56:57], v[132:135]// 00000000B8DC: D3F30084 1E127190
	buffer_load_dwordx4 a[128:131], v72, s[84:87], 0 offen     // 00000000B8E4: E05C1000 80958048
	v_mfma_f32_16x16x32_fp8_fp8 v[132:135], a[146:147], a[58:59], v[132:135]// 00000000B8EC: D3F30084 1E127592
	v_mfma_f32_16x16x32_fp8_fp8 v[132:135], a[148:149], a[60:61], v[132:135]// 00000000B8F4: D3F30084 1E127994
	ds_read_b128 a[0:3], v2                                    // 00000000B8FC: DBFE0000 00000002
	ds_read_b128 a[4:7], v2 offset:64                          // 00000000B904: DBFE0040 04000002
	v_mfma_f32_16x16x32_fp8_fp8 v[132:135], a[150:151], a[62:63], v[132:135]// 00000000B90C: D3F30084 1E127D96
	v_mfma_f32_16x16x32_fp8_fp8 v[160:163], a[152:153], a[56:57], v[160:163]// 00000000B914: D3F300A0 1E827198
	buffer_load_dwordx4 a[132:135], v72, s[84:87], 0 offen offset:1024// 00000000B91C: E05C1400 80958448
	v_mfma_f32_16x16x32_fp8_fp8 v[160:163], a[154:155], a[58:59], v[160:163]// 00000000B924: D3F300A0 1E82759A
	v_mfma_f32_16x16x32_fp8_fp8 v[160:163], a[156:157], a[60:61], v[160:163]// 00000000B92C: D3F300A0 1E82799C
	ds_read_b128 a[8:11], v2 offset:512                        // 00000000B934: DBFE0200 08000002
	ds_read_b128 a[12:15], v2 offset:576                       // 00000000B93C: DBFE0240 0C000002
	v_mfma_f32_16x16x32_fp8_fp8 v[160:163], a[158:159], a[62:63], v[160:163]// 00000000B944: D3F300A0 1E827D9E
	v_mfma_f32_16x16x32_fp8_fp8 v[136:139], a[144:145], a[64:65], v[136:139]// 00000000B94C: D3F30088 1E228190
	buffer_load_dwordx4 a[136:139], v73, s[84:87], 0 offen     // 00000000B954: E05C1000 80958849
	v_mfma_f32_16x16x32_fp8_fp8 v[136:139], a[146:147], a[66:67], v[136:139]// 00000000B95C: D3F30088 1E228592
	v_mfma_f32_16x16x32_fp8_fp8 v[136:139], a[148:149], a[68:69], v[136:139]// 00000000B964: D3F30088 1E228994
	ds_read_b128 a[16:19], v2 offset:1024                      // 00000000B96C: DBFE0400 10000002
	ds_read_b128 a[20:23], v2 offset:1088                      // 00000000B974: DBFE0440 14000002
	v_mfma_f32_16x16x32_fp8_fp8 v[136:139], a[150:151], a[70:71], v[136:139]// 00000000B97C: D3F30088 1E228D96
	v_mfma_f32_16x16x32_fp8_fp8 v[164:167], a[152:153], a[64:65], v[164:167]// 00000000B984: D3F300A4 1E928198
	buffer_load_dwordx4 a[140:143], v73, s[84:87], 0 offen offset:1024// 00000000B98C: E05C1400 80958C49
	v_mfma_f32_16x16x32_fp8_fp8 v[164:167], a[154:155], a[66:67], v[164:167]// 00000000B994: D3F300A4 1E92859A
	v_mfma_f32_16x16x32_fp8_fp8 v[164:167], a[156:157], a[68:69], v[164:167]// 00000000B99C: D3F300A4 1E92899C
	ds_read_b128 a[24:27], v2 offset:1536                      // 00000000B9A4: DBFE0600 18000002
	ds_read_b128 a[28:31], v2 offset:1600                      // 00000000B9AC: DBFE0640 1C000002
	v_mfma_f32_16x16x32_fp8_fp8 v[164:167], a[158:159], a[70:71], v[164:167]// 00000000B9B4: D3F300A4 1E928D9E
	v_mfma_f32_16x16x32_fp8_fp8 v[140:143], a[144:145], a[72:73], v[140:143]// 00000000B9BC: D3F3008C 1E329190
	v_mfma_f32_16x16x32_fp8_fp8 v[140:143], a[146:147], a[74:75], v[140:143]// 00000000B9C4: D3F3008C 1E329592
	v_mfma_f32_16x16x32_fp8_fp8 v[140:143], a[148:149], a[76:77], v[140:143]// 00000000B9CC: D3F3008C 1E329994
	ds_read_b128 a[32:35], v2 offset:2048                      // 00000000B9D4: DBFE0800 20000002
	ds_read_b128 a[36:39], v2 offset:2112                      // 00000000B9DC: DBFE0840 24000002
	v_mfma_f32_16x16x32_fp8_fp8 v[140:143], a[150:151], a[78:79], v[140:143]// 00000000B9E4: D3F3008C 1E329D96
	v_mfma_f32_16x16x32_fp8_fp8 v[168:171], a[152:153], a[72:73], v[168:171]// 00000000B9EC: D3F300A8 1EA29198
	v_mfma_f32_16x16x32_fp8_fp8 v[168:171], a[154:155], a[74:75], v[168:171]// 00000000B9F4: D3F300A8 1EA2959A
	v_mfma_f32_16x16x32_fp8_fp8 v[168:171], a[156:157], a[76:77], v[168:171]// 00000000B9FC: D3F300A8 1EA2999C
	ds_read_b128 a[40:43], v2 offset:2560                      // 00000000BA04: DBFE0A00 28000002
	ds_read_b128 a[44:47], v2 offset:2624                      // 00000000BA0C: DBFE0A40 2C000002
	v_mfma_f32_16x16x32_fp8_fp8 v[168:171], a[158:159], a[78:79], v[168:171]// 00000000BA14: D3F300A8 1EA29D9E
	v_mfma_f32_16x16x32_fp8_fp8 v[144:147], a[144:145], a[80:81], v[144:147]// 00000000BA1C: D3F30090 1E42A190
	v_mfma_f32_16x16x32_fp8_fp8 v[144:147], a[146:147], a[82:83], v[144:147]// 00000000BA24: D3F30090 1E42A592
	v_mfma_f32_16x16x32_fp8_fp8 v[144:147], a[148:149], a[84:85], v[144:147]// 00000000BA2C: D3F30090 1E42A994
	ds_read_b128 a[48:51], v2 offset:3072                      // 00000000BA34: DBFE0C00 30000002
	ds_read_b128 a[52:55], v2 offset:3136                      // 00000000BA3C: DBFE0C40 34000002
	v_mfma_f32_16x16x32_fp8_fp8 v[144:147], a[150:151], a[86:87], v[144:147]// 00000000BA44: D3F30090 1E42AD96
	v_mfma_f32_16x16x32_fp8_fp8 v[172:175], a[152:153], a[80:81], v[172:175]// 00000000BA4C: D3F300AC 1EB2A198
	v_mfma_f32_16x16x32_fp8_fp8 v[172:175], a[154:155], a[82:83], v[172:175]// 00000000BA54: D3F300AC 1EB2A59A
	v_mfma_f32_16x16x32_fp8_fp8 v[172:175], a[156:157], a[84:85], v[172:175]// 00000000BA5C: D3F300AC 1EB2A99C
	v_mfma_f32_16x16x32_fp8_fp8 v[172:175], a[158:159], a[86:87], v[172:175]// 00000000BA64: D3F300AC 1EB2AD9E
	v_mfma_f32_16x16x32_fp8_fp8 v[148:151], a[144:145], a[88:89], v[148:151]// 00000000BA6C: D3F30094 1E52B190
	v_mfma_f32_16x16x32_fp8_fp8 v[148:151], a[146:147], a[90:91], v[148:151]// 00000000BA74: D3F30094 1E52B592
	v_mfma_f32_16x16x32_fp8_fp8 v[148:151], a[148:149], a[92:93], v[148:151]// 00000000BA7C: D3F30094 1E52B994
	v_mfma_f32_16x16x32_fp8_fp8 v[148:151], a[150:151], a[94:95], v[148:151]// 00000000BA84: D3F30094 1E52BD96
	v_mfma_f32_16x16x32_fp8_fp8 v[176:179], a[152:153], a[88:89], v[176:179]// 00000000BA8C: D3F300B0 1EC2B198
	v_mfma_f32_16x16x32_fp8_fp8 v[176:179], a[154:155], a[90:91], v[176:179]// 00000000BA94: D3F300B0 1EC2B59A
	v_mfma_f32_16x16x32_fp8_fp8 v[176:179], a[156:157], a[92:93], v[176:179]// 00000000BA9C: D3F300B0 1EC2B99C
	v_mfma_f32_16x16x32_fp8_fp8 v[176:179], a[158:159], a[94:95], v[176:179]// 00000000BAA4: D3F300B0 1EC2BD9E
	v_mfma_f32_16x16x32_fp8_fp8 v[152:155], a[144:145], a[96:97], v[152:155]// 00000000BAAC: D3F30098 1E62C190
	v_mfma_f32_16x16x32_fp8_fp8 v[152:155], a[146:147], a[98:99], v[152:155]// 00000000BAB4: D3F30098 1E62C592
	v_mfma_f32_16x16x32_fp8_fp8 v[152:155], a[148:149], a[100:101], v[152:155]// 00000000BABC: D3F30098 1E62C994
	v_mfma_f32_16x16x32_fp8_fp8 v[152:155], a[150:151], a[102:103], v[152:155]// 00000000BAC4: D3F30098 1E62CD96
	v_mfma_f32_16x16x32_fp8_fp8 v[180:183], a[152:153], a[96:97], v[180:183]// 00000000BACC: D3F300B4 1ED2C198
	v_mfma_f32_16x16x32_fp8_fp8 v[180:183], a[154:155], a[98:99], v[180:183]// 00000000BAD4: D3F300B4 1ED2C59A
	v_mfma_f32_16x16x32_fp8_fp8 v[180:183], a[156:157], a[100:101], v[180:183]// 00000000BADC: D3F300B4 1ED2C99C
	v_mfma_f32_16x16x32_fp8_fp8 v[180:183], a[158:159], a[102:103], v[180:183]// 00000000BAE4: D3F300B4 1ED2CD9E
	v_mfma_f32_16x16x32_fp8_fp8 v[156:159], a[144:145], a[104:105], v[156:159]// 00000000BAEC: D3F3009C 1E72D190
	s_add_u32 s60, 0x180, s80                                  // 00000000BAF4: 803C50FF 00000180
	s_cmp_lt_u32 s60, s81                                      // 00000000BAFC: BF0A513C
	s_cselect_b32 s57, s57, 0                                  // 00000000BB00: 85398039
	v_mfma_f32_16x16x32_fp8_fp8 v[156:159], a[146:147], a[106:107], v[156:159]// 00000000BB04: D3F3009C 1E72D592
	s_add_u32 s60, 0x100, s80                                  // 00000000BB0C: 803C50FF 00000100
	s_cmp_lt_u32 s60, s81                                      // 00000000BB14: BF0A513C
	s_cselect_b32 s58, s58, 0                                  // 00000000BB18: 853A803A
	v_mfma_f32_16x16x32_fp8_fp8 v[156:159], a[148:149], a[108:109], v[156:159]// 00000000BB1C: D3F3009C 1E72D994
	s_add_u32 s60, 0x100, s80                                  // 00000000BB24: 803C50FF 00000100
	s_cmp_lt_u32 s60, s81                                      // 00000000BB2C: BF0A513C
	s_cselect_b32 s83, s83, 0                                  // 00000000BB30: 85538053
	v_mfma_f32_16x16x32_fp8_fp8 v[156:159], a[150:151], a[110:111], v[156:159]// 00000000BB34: D3F3009C 1E72DD96
	s_add_u32 s24, s58, s24                                    // 00000000BB3C: 8018183A
	s_addc_u32 s25, 0, s25                                     // 00000000BB40: 82191980
	v_mfma_f32_16x16x32_fp8_fp8 v[184:187], a[152:153], a[104:105], v[184:187]// 00000000BB44: D3F300B8 1EE2D198
	s_add_u32 s20, s57, s20                                    // 00000000BB4C: 80141439
	s_addc_u32 s21, 0, s21                                     // 00000000BB50: 82151580
	v_mfma_f32_16x16x32_fp8_fp8 v[184:187], a[154:155], a[106:107], v[184:187]// 00000000BB54: D3F300B8 1EE2D59A
	s_add_u32 s84, s83, s84                                    // 00000000BB5C: 80545453
	s_addc_u32 s85, 0, s85                                     // 00000000BB60: 82555580
	v_mfma_f32_16x16x32_fp8_fp8 v[184:187], a[156:157], a[108:109], v[184:187]// 00000000BB64: D3F300B8 1EE2D99C
	v_mfma_f32_16x16x32_fp8_fp8 v[184:187], a[158:159], a[110:111], v[184:187]// 00000000BB6C: D3F300B8 1EE2DD9E
	s_addk_i32 s80, 0x80                                       // 00000000BB74: B7500080
	s_cmp_lt_i32 s80, s81                                      // 00000000BB78: BF045150
	s_cbranch_scc0 label_2464                                  // 00000000BB7C: BF840001
	s_branch label_1C41                                        // 00000000BB80: BF82F7DD

000000000000bb84 <label_2464>:
	v_mul_f32_dpp v76, v24, v76 row_newbcast:0 row_mask:0xf bank_mask:0xf// 00000000BB84: 0A9898FA FF015018
	v_mul_f32_dpp v77, v24, v77 row_newbcast:1 row_mask:0xf bank_mask:0xf// 00000000BB8C: 0A9A9AFA FF015118
	v_mul_f32_dpp v78, v24, v78 row_newbcast:2 row_mask:0xf bank_mask:0xf// 00000000BB94: 0A9C9CFA FF015218
	v_mul_f32_dpp v79, v24, v79 row_newbcast:3 row_mask:0xf bank_mask:0xf// 00000000BB9C: 0A9E9EFA FF015318
	v_mul_f32_dpp v80, v24, v80 row_newbcast:0 row_mask:0xf bank_mask:0xf// 00000000BBA4: 0AA0A0FA FF015018
	v_mul_f32_dpp v81, v24, v81 row_newbcast:1 row_mask:0xf bank_mask:0xf// 00000000BBAC: 0AA2A2FA FF015118
	v_mul_f32_dpp v82, v24, v82 row_newbcast:2 row_mask:0xf bank_mask:0xf// 00000000BBB4: 0AA4A4FA FF015218
	v_mul_f32_dpp v83, v24, v83 row_newbcast:3 row_mask:0xf bank_mask:0xf// 00000000BBBC: 0AA6A6FA FF015318
	v_mul_f32_dpp v84, v24, v84 row_newbcast:0 row_mask:0xf bank_mask:0xf// 00000000BBC4: 0AA8A8FA FF015018
	v_mul_f32_dpp v85, v24, v85 row_newbcast:1 row_mask:0xf bank_mask:0xf// 00000000BBCC: 0AAAAAFA FF015118
	v_mul_f32_dpp v86, v24, v86 row_newbcast:2 row_mask:0xf bank_mask:0xf// 00000000BBD4: 0AACACFA FF015218
	v_mul_f32_dpp v87, v24, v87 row_newbcast:3 row_mask:0xf bank_mask:0xf// 00000000BBDC: 0AAEAEFA FF015318
	v_mul_f32_dpp v88, v24, v88 row_newbcast:0 row_mask:0xf bank_mask:0xf// 00000000BBE4: 0AB0B0FA FF015018
	v_mul_f32_dpp v89, v24, v89 row_newbcast:1 row_mask:0xf bank_mask:0xf// 00000000BBEC: 0AB2B2FA FF015118
	v_mul_f32_dpp v90, v24, v90 row_newbcast:2 row_mask:0xf bank_mask:0xf// 00000000BBF4: 0AB4B4FA FF015218
	v_mul_f32_dpp v91, v24, v91 row_newbcast:3 row_mask:0xf bank_mask:0xf// 00000000BBFC: 0AB6B6FA FF015318
	v_mul_f32_dpp v92, v24, v92 row_newbcast:0 row_mask:0xf bank_mask:0xf// 00000000BC04: 0AB8B8FA FF015018
	v_mul_f32_dpp v93, v24, v93 row_newbcast:1 row_mask:0xf bank_mask:0xf// 00000000BC0C: 0ABABAFA FF015118
	v_mul_f32_dpp v94, v24, v94 row_newbcast:2 row_mask:0xf bank_mask:0xf// 00000000BC14: 0ABCBCFA FF015218
	v_mul_f32_dpp v95, v24, v95 row_newbcast:3 row_mask:0xf bank_mask:0xf// 00000000BC1C: 0ABEBEFA FF015318
	v_mul_f32_dpp v96, v24, v96 row_newbcast:0 row_mask:0xf bank_mask:0xf// 00000000BC24: 0AC0C0FA FF015018
	v_mul_f32_dpp v97, v24, v97 row_newbcast:1 row_mask:0xf bank_mask:0xf// 00000000BC2C: 0AC2C2FA FF015118
	v_mul_f32_dpp v98, v24, v98 row_newbcast:2 row_mask:0xf bank_mask:0xf// 00000000BC34: 0AC4C4FA FF015218
	v_mul_f32_dpp v99, v24, v99 row_newbcast:3 row_mask:0xf bank_mask:0xf// 00000000BC3C: 0AC6C6FA FF015318
	v_mul_f32_dpp v100, v24, v100 row_newbcast:0 row_mask:0xf bank_mask:0xf// 00000000BC44: 0AC8C8FA FF015018
	v_mul_f32_dpp v101, v24, v101 row_newbcast:1 row_mask:0xf bank_mask:0xf// 00000000BC4C: 0ACACAFA FF015118
	v_mul_f32_dpp v102, v24, v102 row_newbcast:2 row_mask:0xf bank_mask:0xf// 00000000BC54: 0ACCCCFA FF015218
	v_mul_f32_dpp v103, v24, v103 row_newbcast:3 row_mask:0xf bank_mask:0xf// 00000000BC5C: 0ACECEFA FF015318
	v_mul_f32_dpp v104, v24, v104 row_newbcast:4 row_mask:0xf bank_mask:0xf// 00000000BC64: 0AD0D0FA FF015418
	v_mul_f32_dpp v105, v24, v105 row_newbcast:5 row_mask:0xf bank_mask:0xf// 00000000BC6C: 0AD2D2FA FF015518
	v_mul_f32_dpp v106, v24, v106 row_newbcast:6 row_mask:0xf bank_mask:0xf// 00000000BC74: 0AD4D4FA FF015618
	v_mul_f32_dpp v107, v24, v107 row_newbcast:7 row_mask:0xf bank_mask:0xf// 00000000BC7C: 0AD6D6FA FF015718
	v_mul_f32_dpp v108, v24, v108 row_newbcast:4 row_mask:0xf bank_mask:0xf// 00000000BC84: 0AD8D8FA FF015418
	v_mul_f32_dpp v109, v24, v109 row_newbcast:5 row_mask:0xf bank_mask:0xf// 00000000BC8C: 0ADADAFA FF015518
	v_mul_f32_dpp v110, v24, v110 row_newbcast:6 row_mask:0xf bank_mask:0xf// 00000000BC94: 0ADCDCFA FF015618
	v_mul_f32_dpp v111, v24, v111 row_newbcast:7 row_mask:0xf bank_mask:0xf// 00000000BC9C: 0ADEDEFA FF015718
	v_mul_f32_dpp v112, v24, v112 row_newbcast:4 row_mask:0xf bank_mask:0xf// 00000000BCA4: 0AE0E0FA FF015418
	v_mul_f32_dpp v113, v24, v113 row_newbcast:5 row_mask:0xf bank_mask:0xf// 00000000BCAC: 0AE2E2FA FF015518
	v_mul_f32_dpp v114, v24, v114 row_newbcast:6 row_mask:0xf bank_mask:0xf// 00000000BCB4: 0AE4E4FA FF015618
	v_mul_f32_dpp v115, v24, v115 row_newbcast:7 row_mask:0xf bank_mask:0xf// 00000000BCBC: 0AE6E6FA FF015718
	v_mul_f32_dpp v116, v24, v116 row_newbcast:4 row_mask:0xf bank_mask:0xf// 00000000BCC4: 0AE8E8FA FF015418
	v_mul_f32_dpp v117, v24, v117 row_newbcast:5 row_mask:0xf bank_mask:0xf// 00000000BCCC: 0AEAEAFA FF015518
	v_mul_f32_dpp v118, v24, v118 row_newbcast:6 row_mask:0xf bank_mask:0xf// 00000000BCD4: 0AECECFA FF015618
	v_mul_f32_dpp v119, v24, v119 row_newbcast:7 row_mask:0xf bank_mask:0xf// 00000000BCDC: 0AEEEEFA FF015718
	v_mul_f32_dpp v120, v24, v120 row_newbcast:4 row_mask:0xf bank_mask:0xf// 00000000BCE4: 0AF0F0FA FF015418
	v_mul_f32_dpp v121, v24, v121 row_newbcast:5 row_mask:0xf bank_mask:0xf// 00000000BCEC: 0AF2F2FA FF015518
	v_mul_f32_dpp v122, v24, v122 row_newbcast:6 row_mask:0xf bank_mask:0xf// 00000000BCF4: 0AF4F4FA FF015618
	v_mul_f32_dpp v123, v24, v123 row_newbcast:7 row_mask:0xf bank_mask:0xf// 00000000BCFC: 0AF6F6FA FF015718
	v_mul_f32_dpp v124, v24, v124 row_newbcast:4 row_mask:0xf bank_mask:0xf// 00000000BD04: 0AF8F8FA FF015418
	v_mul_f32_dpp v125, v24, v125 row_newbcast:5 row_mask:0xf bank_mask:0xf// 00000000BD0C: 0AFAFAFA FF015518
	v_mul_f32_dpp v126, v24, v126 row_newbcast:6 row_mask:0xf bank_mask:0xf// 00000000BD14: 0AFCFCFA FF015618
	v_mul_f32_dpp v127, v24, v127 row_newbcast:7 row_mask:0xf bank_mask:0xf// 00000000BD1C: 0AFEFEFA FF015718
	v_mul_f32_dpp v128, v24, v128 row_newbcast:4 row_mask:0xf bank_mask:0xf// 00000000BD24: 0B0100FA FF015418
	v_mul_f32_dpp v129, v24, v129 row_newbcast:5 row_mask:0xf bank_mask:0xf// 00000000BD2C: 0B0302FA FF015518
	v_mul_f32_dpp v130, v24, v130 row_newbcast:6 row_mask:0xf bank_mask:0xf// 00000000BD34: 0B0504FA FF015618
	v_mul_f32_dpp v131, v24, v131 row_newbcast:7 row_mask:0xf bank_mask:0xf// 00000000BD3C: 0B0706FA FF015718
	v_mul_f32_dpp v132, v27, v132 row_newbcast:0 row_mask:0xf bank_mask:0xf// 00000000BD44: 0B0908FA FF01501B
	v_mul_f32_dpp v133, v27, v133 row_newbcast:1 row_mask:0xf bank_mask:0xf// 00000000BD4C: 0B0B0AFA FF01511B
	v_mul_f32_dpp v134, v27, v134 row_newbcast:2 row_mask:0xf bank_mask:0xf// 00000000BD54: 0B0D0CFA FF01521B
	v_mul_f32_dpp v135, v27, v135 row_newbcast:3 row_mask:0xf bank_mask:0xf// 00000000BD5C: 0B0F0EFA FF01531B
	v_mul_f32_dpp v136, v27, v136 row_newbcast:0 row_mask:0xf bank_mask:0xf// 00000000BD64: 0B1110FA FF01501B
	v_mul_f32_dpp v137, v27, v137 row_newbcast:1 row_mask:0xf bank_mask:0xf// 00000000BD6C: 0B1312FA FF01511B
	v_mul_f32_dpp v138, v27, v138 row_newbcast:2 row_mask:0xf bank_mask:0xf// 00000000BD74: 0B1514FA FF01521B
	v_mul_f32_dpp v139, v27, v139 row_newbcast:3 row_mask:0xf bank_mask:0xf// 00000000BD7C: 0B1716FA FF01531B
	v_mul_f32_dpp v140, v27, v140 row_newbcast:0 row_mask:0xf bank_mask:0xf// 00000000BD84: 0B1918FA FF01501B
	v_mul_f32_dpp v141, v27, v141 row_newbcast:1 row_mask:0xf bank_mask:0xf// 00000000BD8C: 0B1B1AFA FF01511B
	v_mul_f32_dpp v142, v27, v142 row_newbcast:2 row_mask:0xf bank_mask:0xf// 00000000BD94: 0B1D1CFA FF01521B
	v_mul_f32_dpp v143, v27, v143 row_newbcast:3 row_mask:0xf bank_mask:0xf// 00000000BD9C: 0B1F1EFA FF01531B
	v_mul_f32_dpp v144, v27, v144 row_newbcast:0 row_mask:0xf bank_mask:0xf// 00000000BDA4: 0B2120FA FF01501B
	v_mul_f32_dpp v145, v27, v145 row_newbcast:1 row_mask:0xf bank_mask:0xf// 00000000BDAC: 0B2322FA FF01511B
	v_mul_f32_dpp v146, v27, v146 row_newbcast:2 row_mask:0xf bank_mask:0xf// 00000000BDB4: 0B2524FA FF01521B
	v_mul_f32_dpp v147, v27, v147 row_newbcast:3 row_mask:0xf bank_mask:0xf// 00000000BDBC: 0B2726FA FF01531B
	v_mul_f32_dpp v148, v27, v148 row_newbcast:0 row_mask:0xf bank_mask:0xf// 00000000BDC4: 0B2928FA FF01501B
	v_mul_f32_dpp v149, v27, v149 row_newbcast:1 row_mask:0xf bank_mask:0xf// 00000000BDCC: 0B2B2AFA FF01511B
	v_mul_f32_dpp v150, v27, v150 row_newbcast:2 row_mask:0xf bank_mask:0xf// 00000000BDD4: 0B2D2CFA FF01521B
	v_mul_f32_dpp v151, v27, v151 row_newbcast:3 row_mask:0xf bank_mask:0xf// 00000000BDDC: 0B2F2EFA FF01531B
	v_mul_f32_dpp v152, v27, v152 row_newbcast:0 row_mask:0xf bank_mask:0xf// 00000000BDE4: 0B3130FA FF01501B
	v_mul_f32_dpp v153, v27, v153 row_newbcast:1 row_mask:0xf bank_mask:0xf// 00000000BDEC: 0B3332FA FF01511B
	v_mul_f32_dpp v154, v27, v154 row_newbcast:2 row_mask:0xf bank_mask:0xf// 00000000BDF4: 0B3534FA FF01521B
	v_mul_f32_dpp v155, v27, v155 row_newbcast:3 row_mask:0xf bank_mask:0xf// 00000000BDFC: 0B3736FA FF01531B
	v_mul_f32_dpp v156, v27, v156 row_newbcast:0 row_mask:0xf bank_mask:0xf// 00000000BE04: 0B3938FA FF01501B
	v_mul_f32_dpp v157, v27, v157 row_newbcast:1 row_mask:0xf bank_mask:0xf// 00000000BE0C: 0B3B3AFA FF01511B
	v_mul_f32_dpp v158, v27, v158 row_newbcast:2 row_mask:0xf bank_mask:0xf// 00000000BE14: 0B3D3CFA FF01521B
	v_mul_f32_dpp v159, v27, v159 row_newbcast:3 row_mask:0xf bank_mask:0xf// 00000000BE1C: 0B3F3EFA FF01531B
	v_mul_f32_dpp v160, v27, v160 row_newbcast:4 row_mask:0xf bank_mask:0xf// 00000000BE24: 0B4140FA FF01541B
	v_mul_f32_dpp v161, v27, v161 row_newbcast:5 row_mask:0xf bank_mask:0xf// 00000000BE2C: 0B4342FA FF01551B
	v_mul_f32_dpp v162, v27, v162 row_newbcast:6 row_mask:0xf bank_mask:0xf// 00000000BE34: 0B4544FA FF01561B
	v_mul_f32_dpp v163, v27, v163 row_newbcast:7 row_mask:0xf bank_mask:0xf// 00000000BE3C: 0B4746FA FF01571B
	v_mul_f32_dpp v164, v27, v164 row_newbcast:4 row_mask:0xf bank_mask:0xf// 00000000BE44: 0B4948FA FF01541B
	v_mul_f32_dpp v165, v27, v165 row_newbcast:5 row_mask:0xf bank_mask:0xf// 00000000BE4C: 0B4B4AFA FF01551B
	v_mul_f32_dpp v166, v27, v166 row_newbcast:6 row_mask:0xf bank_mask:0xf// 00000000BE54: 0B4D4CFA FF01561B
	v_mul_f32_dpp v167, v27, v167 row_newbcast:7 row_mask:0xf bank_mask:0xf// 00000000BE5C: 0B4F4EFA FF01571B
	v_mul_f32_dpp v168, v27, v168 row_newbcast:4 row_mask:0xf bank_mask:0xf// 00000000BE64: 0B5150FA FF01541B
	v_mul_f32_dpp v169, v27, v169 row_newbcast:5 row_mask:0xf bank_mask:0xf// 00000000BE6C: 0B5352FA FF01551B
	v_mul_f32_dpp v170, v27, v170 row_newbcast:6 row_mask:0xf bank_mask:0xf// 00000000BE74: 0B5554FA FF01561B
	v_mul_f32_dpp v171, v27, v171 row_newbcast:7 row_mask:0xf bank_mask:0xf// 00000000BE7C: 0B5756FA FF01571B
	v_mul_f32_dpp v172, v27, v172 row_newbcast:4 row_mask:0xf bank_mask:0xf// 00000000BE84: 0B5958FA FF01541B
	v_mul_f32_dpp v173, v27, v173 row_newbcast:5 row_mask:0xf bank_mask:0xf// 00000000BE8C: 0B5B5AFA FF01551B
	v_mul_f32_dpp v174, v27, v174 row_newbcast:6 row_mask:0xf bank_mask:0xf// 00000000BE94: 0B5D5CFA FF01561B
	v_mul_f32_dpp v175, v27, v175 row_newbcast:7 row_mask:0xf bank_mask:0xf// 00000000BE9C: 0B5F5EFA FF01571B
	v_mul_f32_dpp v176, v27, v176 row_newbcast:4 row_mask:0xf bank_mask:0xf// 00000000BEA4: 0B6160FA FF01541B
	v_mul_f32_dpp v177, v27, v177 row_newbcast:5 row_mask:0xf bank_mask:0xf// 00000000BEAC: 0B6362FA FF01551B
	v_mul_f32_dpp v178, v27, v178 row_newbcast:6 row_mask:0xf bank_mask:0xf// 00000000BEB4: 0B6564FA FF01561B
	v_mul_f32_dpp v179, v27, v179 row_newbcast:7 row_mask:0xf bank_mask:0xf// 00000000BEBC: 0B6766FA FF01571B
	v_mul_f32_dpp v180, v27, v180 row_newbcast:4 row_mask:0xf bank_mask:0xf// 00000000BEC4: 0B6968FA FF01541B
	v_mul_f32_dpp v181, v27, v181 row_newbcast:5 row_mask:0xf bank_mask:0xf// 00000000BECC: 0B6B6AFA FF01551B
	v_mul_f32_dpp v182, v27, v182 row_newbcast:6 row_mask:0xf bank_mask:0xf// 00000000BED4: 0B6D6CFA FF01561B
	v_mul_f32_dpp v183, v27, v183 row_newbcast:7 row_mask:0xf bank_mask:0xf// 00000000BEDC: 0B6F6EFA FF01571B
	v_mul_f32_dpp v184, v27, v184 row_newbcast:4 row_mask:0xf bank_mask:0xf// 00000000BEE4: 0B7170FA FF01541B
	v_mul_f32_dpp v185, v27, v185 row_newbcast:5 row_mask:0xf bank_mask:0xf// 00000000BEEC: 0B7372FA FF01551B
	v_mul_f32_dpp v186, v27, v186 row_newbcast:6 row_mask:0xf bank_mask:0xf// 00000000BEF4: 0B7574FA FF01561B
	v_mul_f32_dpp v187, v27, v187 row_newbcast:7 row_mask:0xf bank_mask:0xf// 00000000BEFC: 0B7776FA FF01571B
	v_mul_f32_e32 v37, v37, v188                               // 00000000BF04: 0A4B7925
	v_mov_b32_e32 v4, v37                                      // 00000000BF08: 7E080325
	v_mov_b32_e32 v5, v4                                       // 00000000BF0C: 7E0A0304
	v_pk_mul_f32 v[76:77], v[4:5], v[76:77]                    // 00000000BF10: D3B1404C 18029904
	v_pk_mul_f32 v[132:133], v[4:5], v[132:133]                // 00000000BF18: D3B14084 18030904
	v_pk_mul_f32 v[78:79], v[4:5], v[78:79]                    // 00000000BF20: D3B1404E 18029D04
	v_pk_mul_f32 v[134:135], v[4:5], v[134:135]                // 00000000BF28: D3B14086 18030D04
	v_pk_mul_f32 v[104:105], v[4:5], v[104:105]                // 00000000BF30: D3B14068 1802D104
	v_pk_mul_f32 v[160:161], v[4:5], v[160:161]                // 00000000BF38: D3B140A0 18034104
	v_pk_mul_f32 v[106:107], v[4:5], v[106:107]                // 00000000BF40: D3B1406A 1802D504
	v_pk_mul_f32 v[162:163], v[4:5], v[162:163]                // 00000000BF48: D3B140A2 18034504
	v_mul_f32_e32 v38, v38, v189                               // 00000000BF50: 0A4D7B26
	v_mov_b32_e32 v4, v38                                      // 00000000BF54: 7E080326
	v_mov_b32_e32 v5, v4                                       // 00000000BF58: 7E0A0304
	v_pk_mul_f32 v[80:81], v[4:5], v[80:81]                    // 00000000BF5C: D3B14050 1802A104
	v_pk_mul_f32 v[136:137], v[4:5], v[136:137]                // 00000000BF64: D3B14088 18031104
	v_pk_mul_f32 v[82:83], v[4:5], v[82:83]                    // 00000000BF6C: D3B14052 1802A504
	v_pk_mul_f32 v[138:139], v[4:5], v[138:139]                // 00000000BF74: D3B1408A 18031504
	v_pk_mul_f32 v[108:109], v[4:5], v[108:109]                // 00000000BF7C: D3B1406C 1802D904
	v_pk_mul_f32 v[164:165], v[4:5], v[164:165]                // 00000000BF84: D3B140A4 18034904
	v_pk_mul_f32 v[110:111], v[4:5], v[110:111]                // 00000000BF8C: D3B1406E 1802DD04
	v_pk_mul_f32 v[166:167], v[4:5], v[166:167]                // 00000000BF94: D3B140A6 18034D04
	v_mul_f32_e32 v39, v39, v190                               // 00000000BF9C: 0A4F7D27
	v_mov_b32_e32 v4, v39                                      // 00000000BFA0: 7E080327
	v_mov_b32_e32 v5, v4                                       // 00000000BFA4: 7E0A0304
	v_pk_mul_f32 v[84:85], v[4:5], v[84:85]                    // 00000000BFA8: D3B14054 1802A904
	v_pk_mul_f32 v[140:141], v[4:5], v[140:141]                // 00000000BFB0: D3B1408C 18031904
	v_pk_mul_f32 v[86:87], v[4:5], v[86:87]                    // 00000000BFB8: D3B14056 1802AD04
	v_pk_mul_f32 v[142:143], v[4:5], v[142:143]                // 00000000BFC0: D3B1408E 18031D04
	v_pk_mul_f32 v[112:113], v[4:5], v[112:113]                // 00000000BFC8: D3B14070 1802E104
	v_pk_mul_f32 v[168:169], v[4:5], v[168:169]                // 00000000BFD0: D3B140A8 18035104
	v_pk_mul_f32 v[114:115], v[4:5], v[114:115]                // 00000000BFD8: D3B14072 1802E504
	v_pk_mul_f32 v[170:171], v[4:5], v[170:171]                // 00000000BFE0: D3B140AA 18035504
	v_mul_f32_e32 v40, v40, v191                               // 00000000BFE8: 0A517F28
	v_mov_b32_e32 v4, v40                                      // 00000000BFEC: 7E080328
	v_mov_b32_e32 v5, v4                                       // 00000000BFF0: 7E0A0304
	v_pk_mul_f32 v[88:89], v[4:5], v[88:89]                    // 00000000BFF4: D3B14058 1802B104
	v_pk_mul_f32 v[144:145], v[4:5], v[144:145]                // 00000000BFFC: D3B14090 18032104
	v_pk_mul_f32 v[90:91], v[4:5], v[90:91]                    // 00000000C004: D3B1405A 1802B504
	v_pk_mul_f32 v[146:147], v[4:5], v[146:147]                // 00000000C00C: D3B14092 18032504
	v_pk_mul_f32 v[116:117], v[4:5], v[116:117]                // 00000000C014: D3B14074 1802E904
	v_pk_mul_f32 v[172:173], v[4:5], v[172:173]                // 00000000C01C: D3B140AC 18035904
	v_pk_mul_f32 v[118:119], v[4:5], v[118:119]                // 00000000C024: D3B14076 1802ED04
	v_pk_mul_f32 v[174:175], v[4:5], v[174:175]                // 00000000C02C: D3B140AE 18035D04
	v_mul_f32_e32 v41, v41, v192                               // 00000000C034: 0A538129
	v_mov_b32_e32 v4, v41                                      // 00000000C038: 7E080329
	v_mov_b32_e32 v5, v4                                       // 00000000C03C: 7E0A0304
	v_pk_mul_f32 v[92:93], v[4:5], v[92:93]                    // 00000000C040: D3B1405C 1802B904
	v_pk_mul_f32 v[148:149], v[4:5], v[148:149]                // 00000000C048: D3B14094 18032904
	v_pk_mul_f32 v[94:95], v[4:5], v[94:95]                    // 00000000C050: D3B1405E 1802BD04
	v_pk_mul_f32 v[150:151], v[4:5], v[150:151]                // 00000000C058: D3B14096 18032D04
	v_pk_mul_f32 v[120:121], v[4:5], v[120:121]                // 00000000C060: D3B14078 1802F104
	v_pk_mul_f32 v[176:177], v[4:5], v[176:177]                // 00000000C068: D3B140B0 18036104
	v_pk_mul_f32 v[122:123], v[4:5], v[122:123]                // 00000000C070: D3B1407A 1802F504
	v_pk_mul_f32 v[178:179], v[4:5], v[178:179]                // 00000000C078: D3B140B2 18036504
	v_mul_f32_e32 v42, v42, v193                               // 00000000C080: 0A55832A
	v_mov_b32_e32 v4, v42                                      // 00000000C084: 7E08032A
	v_mov_b32_e32 v5, v4                                       // 00000000C088: 7E0A0304
	v_pk_mul_f32 v[96:97], v[4:5], v[96:97]                    // 00000000C08C: D3B14060 1802C104
	v_pk_mul_f32 v[152:153], v[4:5], v[152:153]                // 00000000C094: D3B14098 18033104
	v_pk_mul_f32 v[98:99], v[4:5], v[98:99]                    // 00000000C09C: D3B14062 1802C504
	v_pk_mul_f32 v[154:155], v[4:5], v[154:155]                // 00000000C0A4: D3B1409A 18033504
	v_pk_mul_f32 v[124:125], v[4:5], v[124:125]                // 00000000C0AC: D3B1407C 1802F904
	v_pk_mul_f32 v[180:181], v[4:5], v[180:181]                // 00000000C0B4: D3B140B4 18036904
	v_pk_mul_f32 v[126:127], v[4:5], v[126:127]                // 00000000C0BC: D3B1407E 1802FD04
	v_pk_mul_f32 v[182:183], v[4:5], v[182:183]                // 00000000C0C4: D3B140B6 18036D04
	v_mul_f32_e32 v43, v43, v194                               // 00000000C0CC: 0A57852B
	v_mov_b32_e32 v4, v43                                      // 00000000C0D0: 7E08032B
	v_mov_b32_e32 v5, v4                                       // 00000000C0D4: 7E0A0304
	v_pk_mul_f32 v[100:101], v[4:5], v[100:101]                // 00000000C0D8: D3B14064 1802C904
	v_pk_mul_f32 v[156:157], v[4:5], v[156:157]                // 00000000C0E0: D3B1409C 18033904
	v_pk_mul_f32 v[102:103], v[4:5], v[102:103]                // 00000000C0E8: D3B14066 1802CD04
	v_pk_mul_f32 v[158:159], v[4:5], v[158:159]                // 00000000C0F0: D3B1409E 18033D04
	v_pk_mul_f32 v[128:129], v[4:5], v[128:129]                // 00000000C0F8: D3B14080 18030104
	v_pk_mul_f32 v[184:185], v[4:5], v[184:185]                // 00000000C100: D3B140B8 18037104
	v_pk_mul_f32 v[130:131], v[4:5], v[130:131]                // 00000000C108: D3B14082 18030504
	v_pk_mul_f32 v[186:187], v[4:5], v[186:187]                // 00000000C110: D3B140BA 18037504
	s_cmp_eq_u32 s88, 0                                        // 00000000C118: BF068058
	s_cbranch_scc0 label_2E04                                  // 00000000C11C: BF840839
	s_cmp_eq_u32 s89, 0                                        // 00000000C120: BF068059
	s_cbranch_scc1 label_2802                                  // 00000000C124: BF850235
	v_mov_b32_e32 v8, v1                                       // 00000000C128: 7E100301
	v_mov_b32_e32 v9, v1                                       // 00000000C12C: 7E120301
	s_mov_b32 s60, s6                                          // 00000000C130: BEBC0006
	s_mov_b32 s61, s6                                          // 00000000C134: BEBD0006
	v_pk_mul_f32 v[4:5], v[76:77], v[76:77]                    // 00000000C138: D3B14004 1802994C
	v_pk_mul_f32 v[6:7], v[78:79], v[78:79]                    // 00000000C140: D3B14006 18029D4E
	v_pk_fma_f32 v[4:5], v[4:5], s[78:79], v[8:9]              // 00000000C148: D3B04004 1C209D04
	v_pk_fma_f32 v[6:7], v[6:7], s[78:79], v[8:9]              // 00000000C150: D3B04006 1C209D06
	v_pk_mul_f32 v[4:5], v[4:5], v[76:77]                      // 00000000C158: D3B14004 18029904
	v_pk_mul_f32 v[6:7], v[6:7], v[78:79]                      // 00000000C160: D3B14006 18029D06
	v_pk_mul_f32 v[4:5], v[4:5], s[60:61]                      // 00000000C168: D3B14004 18007904
	v_pk_mul_f32 v[6:7], v[6:7], s[60:61]                      // 00000000C170: D3B14006 18007906
	v_exp_f32_e32 v4, v4                                       // 00000000C178: 7E084104
	v_exp_f32_e32 v5, v5                                       // 00000000C17C: 7E0A4105
	v_exp_f32_e32 v6, v6                                       // 00000000C180: 7E0C4106
	v_exp_f32_e32 v7, v7                                       // 00000000C184: 7E0E4107
	v_add_f32_e64 v4, v4, 1.0                                  // 00000000C188: D1010004 0001E504
	v_add_f32_e64 v5, v5, 1.0                                  // 00000000C190: D1010005 0001E505
	v_add_f32_e64 v6, v6, 1.0                                  // 00000000C198: D1010006 0001E506
	v_add_f32_e64 v7, v7, 1.0                                  // 00000000C1A0: D1010007 0001E507
	v_rcp_f32_e32 v4, v4                                       // 00000000C1A8: 7E084504
	v_rcp_f32_e32 v5, v5                                       // 00000000C1AC: 7E0A4505
	v_rcp_f32_e32 v6, v6                                       // 00000000C1B0: 7E0C4506
	v_rcp_f32_e32 v7, v7                                       // 00000000C1B4: 7E0E4507
	v_mul_f32_e32 v76, v76, v4                                 // 00000000C1B8: 0A98094C
	v_mul_f32_e32 v77, v77, v5                                 // 00000000C1BC: 0A9A0B4D
	v_mul_f32_e32 v78, v78, v6                                 // 00000000C1C0: 0A9C0D4E
	v_mul_f32_e32 v79, v79, v7                                 // 00000000C1C4: 0A9E0F4F
	v_mul_f32_e32 v76, v76, v132                               // 00000000C1C8: 0A99094C
	v_mul_f32_e32 v77, v77, v133                               // 00000000C1CC: 0A9B0B4D
	v_mul_f32_e32 v78, v78, v134                               // 00000000C1D0: 0A9D0D4E
	v_mul_f32_e32 v79, v79, v135                               // 00000000C1D4: 0A9F0F4F
	v_pk_mul_f32 v[4:5], v[80:81], v[80:81]                    // 00000000C1D8: D3B14004 1802A150
	v_pk_mul_f32 v[6:7], v[82:83], v[82:83]                    // 00000000C1E0: D3B14006 1802A552
	v_pk_fma_f32 v[4:5], v[4:5], s[78:79], v[8:9]              // 00000000C1E8: D3B04004 1C209D04
	v_pk_fma_f32 v[6:7], v[6:7], s[78:79], v[8:9]              // 00000000C1F0: D3B04006 1C209D06
	v_pk_mul_f32 v[4:5], v[4:5], v[80:81]                      // 00000000C1F8: D3B14004 1802A104
	v_pk_mul_f32 v[6:7], v[6:7], v[82:83]                      // 00000000C200: D3B14006 1802A506
	v_pk_mul_f32 v[4:5], v[4:5], s[60:61]                      // 00000000C208: D3B14004 18007904
	v_pk_mul_f32 v[6:7], v[6:7], s[60:61]                      // 00000000C210: D3B14006 18007906
	v_exp_f32_e32 v4, v4                                       // 00000000C218: 7E084104
	v_exp_f32_e32 v5, v5                                       // 00000000C21C: 7E0A4105
	v_exp_f32_e32 v6, v6                                       // 00000000C220: 7E0C4106
	v_exp_f32_e32 v7, v7                                       // 00000000C224: 7E0E4107
	v_add_f32_e64 v4, v4, 1.0                                  // 00000000C228: D1010004 0001E504
	v_add_f32_e64 v5, v5, 1.0                                  // 00000000C230: D1010005 0001E505
	v_add_f32_e64 v6, v6, 1.0                                  // 00000000C238: D1010006 0001E506
	v_add_f32_e64 v7, v7, 1.0                                  // 00000000C240: D1010007 0001E507
	v_rcp_f32_e32 v4, v4                                       // 00000000C248: 7E084504
	v_rcp_f32_e32 v5, v5                                       // 00000000C24C: 7E0A4505
	v_rcp_f32_e32 v6, v6                                       // 00000000C250: 7E0C4506
	v_rcp_f32_e32 v7, v7                                       // 00000000C254: 7E0E4507
	v_mul_f32_e32 v80, v80, v4                                 // 00000000C258: 0AA00950
	v_mul_f32_e32 v81, v81, v5                                 // 00000000C25C: 0AA20B51
	v_mul_f32_e32 v82, v82, v6                                 // 00000000C260: 0AA40D52
	v_mul_f32_e32 v83, v83, v7                                 // 00000000C264: 0AA60F53
	v_mul_f32_e32 v80, v80, v136                               // 00000000C268: 0AA11150
	v_mul_f32_e32 v81, v81, v137                               // 00000000C26C: 0AA31351
	v_mul_f32_e32 v82, v82, v138                               // 00000000C270: 0AA51552
	v_mul_f32_e32 v83, v83, v139                               // 00000000C274: 0AA71753
	v_pk_mul_f32 v[4:5], v[84:85], v[84:85]                    // 00000000C278: D3B14004 1802A954
	v_pk_mul_f32 v[6:7], v[86:87], v[86:87]                    // 00000000C280: D3B14006 1802AD56
	v_pk_fma_f32 v[4:5], v[4:5], s[78:79], v[8:9]              // 00000000C288: D3B04004 1C209D04
	v_pk_fma_f32 v[6:7], v[6:7], s[78:79], v[8:9]              // 00000000C290: D3B04006 1C209D06
	v_pk_mul_f32 v[4:5], v[4:5], v[84:85]                      // 00000000C298: D3B14004 1802A904
	v_pk_mul_f32 v[6:7], v[6:7], v[86:87]                      // 00000000C2A0: D3B14006 1802AD06
	v_pk_mul_f32 v[4:5], v[4:5], s[60:61]                      // 00000000C2A8: D3B14004 18007904
	v_pk_mul_f32 v[6:7], v[6:7], s[60:61]                      // 00000000C2B0: D3B14006 18007906
	v_exp_f32_e32 v4, v4                                       // 00000000C2B8: 7E084104
	v_exp_f32_e32 v5, v5                                       // 00000000C2BC: 7E0A4105
	v_exp_f32_e32 v6, v6                                       // 00000000C2C0: 7E0C4106
	v_exp_f32_e32 v7, v7                                       // 00000000C2C4: 7E0E4107
	v_add_f32_e64 v4, v4, 1.0                                  // 00000000C2C8: D1010004 0001E504
	v_add_f32_e64 v5, v5, 1.0                                  // 00000000C2D0: D1010005 0001E505
	v_add_f32_e64 v6, v6, 1.0                                  // 00000000C2D8: D1010006 0001E506
	v_add_f32_e64 v7, v7, 1.0                                  // 00000000C2E0: D1010007 0001E507
	v_rcp_f32_e32 v4, v4                                       // 00000000C2E8: 7E084504
	v_rcp_f32_e32 v5, v5                                       // 00000000C2EC: 7E0A4505
	v_rcp_f32_e32 v6, v6                                       // 00000000C2F0: 7E0C4506
	v_rcp_f32_e32 v7, v7                                       // 00000000C2F4: 7E0E4507
	v_mul_f32_e32 v84, v84, v4                                 // 00000000C2F8: 0AA80954
	v_mul_f32_e32 v85, v85, v5                                 // 00000000C2FC: 0AAA0B55
	v_mul_f32_e32 v86, v86, v6                                 // 00000000C300: 0AAC0D56
	v_mul_f32_e32 v87, v87, v7                                 // 00000000C304: 0AAE0F57
	v_mul_f32_e32 v84, v84, v140                               // 00000000C308: 0AA91954
	v_mul_f32_e32 v85, v85, v141                               // 00000000C30C: 0AAB1B55
	v_mul_f32_e32 v86, v86, v142                               // 00000000C310: 0AAD1D56
	v_mul_f32_e32 v87, v87, v143                               // 00000000C314: 0AAF1F57
	v_pk_mul_f32 v[4:5], v[88:89], v[88:89]                    // 00000000C318: D3B14004 1802B158
	v_pk_mul_f32 v[6:7], v[90:91], v[90:91]                    // 00000000C320: D3B14006 1802B55A
	v_pk_fma_f32 v[4:5], v[4:5], s[78:79], v[8:9]              // 00000000C328: D3B04004 1C209D04
	v_pk_fma_f32 v[6:7], v[6:7], s[78:79], v[8:9]              // 00000000C330: D3B04006 1C209D06
	v_pk_mul_f32 v[4:5], v[4:5], v[88:89]                      // 00000000C338: D3B14004 1802B104
	v_pk_mul_f32 v[6:7], v[6:7], v[90:91]                      // 00000000C340: D3B14006 1802B506
	v_pk_mul_f32 v[4:5], v[4:5], s[60:61]                      // 00000000C348: D3B14004 18007904
	v_pk_mul_f32 v[6:7], v[6:7], s[60:61]                      // 00000000C350: D3B14006 18007906
	v_exp_f32_e32 v4, v4                                       // 00000000C358: 7E084104
	v_exp_f32_e32 v5, v5                                       // 00000000C35C: 7E0A4105
	v_exp_f32_e32 v6, v6                                       // 00000000C360: 7E0C4106
	v_exp_f32_e32 v7, v7                                       // 00000000C364: 7E0E4107
	v_add_f32_e64 v4, v4, 1.0                                  // 00000000C368: D1010004 0001E504
	v_add_f32_e64 v5, v5, 1.0                                  // 00000000C370: D1010005 0001E505
	v_add_f32_e64 v6, v6, 1.0                                  // 00000000C378: D1010006 0001E506
	v_add_f32_e64 v7, v7, 1.0                                  // 00000000C380: D1010007 0001E507
	v_rcp_f32_e32 v4, v4                                       // 00000000C388: 7E084504
	v_rcp_f32_e32 v5, v5                                       // 00000000C38C: 7E0A4505
	v_rcp_f32_e32 v6, v6                                       // 00000000C390: 7E0C4506
	v_rcp_f32_e32 v7, v7                                       // 00000000C394: 7E0E4507
	v_mul_f32_e32 v88, v88, v4                                 // 00000000C398: 0AB00958
	v_mul_f32_e32 v89, v89, v5                                 // 00000000C39C: 0AB20B59
	v_mul_f32_e32 v90, v90, v6                                 // 00000000C3A0: 0AB40D5A
	v_mul_f32_e32 v91, v91, v7                                 // 00000000C3A4: 0AB60F5B
	v_mul_f32_e32 v88, v88, v144                               // 00000000C3A8: 0AB12158
	v_mul_f32_e32 v89, v89, v145                               // 00000000C3AC: 0AB32359
	v_mul_f32_e32 v90, v90, v146                               // 00000000C3B0: 0AB5255A
	v_mul_f32_e32 v91, v91, v147                               // 00000000C3B4: 0AB7275B
	v_pk_mul_f32 v[4:5], v[92:93], v[92:93]                    // 00000000C3B8: D3B14004 1802B95C
	v_pk_mul_f32 v[6:7], v[94:95], v[94:95]                    // 00000000C3C0: D3B14006 1802BD5E
	v_pk_fma_f32 v[4:5], v[4:5], s[78:79], v[8:9]              // 00000000C3C8: D3B04004 1C209D04
	v_pk_fma_f32 v[6:7], v[6:7], s[78:79], v[8:9]              // 00000000C3D0: D3B04006 1C209D06
	v_pk_mul_f32 v[4:5], v[4:5], v[92:93]                      // 00000000C3D8: D3B14004 1802B904
	v_pk_mul_f32 v[6:7], v[6:7], v[94:95]                      // 00000000C3E0: D3B14006 1802BD06
	v_pk_mul_f32 v[4:5], v[4:5], s[60:61]                      // 00000000C3E8: D3B14004 18007904
	v_pk_mul_f32 v[6:7], v[6:7], s[60:61]                      // 00000000C3F0: D3B14006 18007906
	v_exp_f32_e32 v4, v4                                       // 00000000C3F8: 7E084104
	v_exp_f32_e32 v5, v5                                       // 00000000C3FC: 7E0A4105
	v_exp_f32_e32 v6, v6                                       // 00000000C400: 7E0C4106
	v_exp_f32_e32 v7, v7                                       // 00000000C404: 7E0E4107
	v_add_f32_e64 v4, v4, 1.0                                  // 00000000C408: D1010004 0001E504
	v_add_f32_e64 v5, v5, 1.0                                  // 00000000C410: D1010005 0001E505
	v_add_f32_e64 v6, v6, 1.0                                  // 00000000C418: D1010006 0001E506
	v_add_f32_e64 v7, v7, 1.0                                  // 00000000C420: D1010007 0001E507
	v_rcp_f32_e32 v4, v4                                       // 00000000C428: 7E084504
	v_rcp_f32_e32 v5, v5                                       // 00000000C42C: 7E0A4505
	v_rcp_f32_e32 v6, v6                                       // 00000000C430: 7E0C4506
	v_rcp_f32_e32 v7, v7                                       // 00000000C434: 7E0E4507
	v_mul_f32_e32 v92, v92, v4                                 // 00000000C438: 0AB8095C
	v_mul_f32_e32 v93, v93, v5                                 // 00000000C43C: 0ABA0B5D
	v_mul_f32_e32 v94, v94, v6                                 // 00000000C440: 0ABC0D5E
	v_mul_f32_e32 v95, v95, v7                                 // 00000000C444: 0ABE0F5F
	v_mul_f32_e32 v92, v92, v148                               // 00000000C448: 0AB9295C
	v_mul_f32_e32 v93, v93, v149                               // 00000000C44C: 0ABB2B5D
	v_mul_f32_e32 v94, v94, v150                               // 00000000C450: 0ABD2D5E
	v_mul_f32_e32 v95, v95, v151                               // 00000000C454: 0ABF2F5F
	v_pk_mul_f32 v[4:5], v[96:97], v[96:97]                    // 00000000C458: D3B14004 1802C160
	v_pk_mul_f32 v[6:7], v[98:99], v[98:99]                    // 00000000C460: D3B14006 1802C562
	v_pk_fma_f32 v[4:5], v[4:5], s[78:79], v[8:9]              // 00000000C468: D3B04004 1C209D04
	v_pk_fma_f32 v[6:7], v[6:7], s[78:79], v[8:9]              // 00000000C470: D3B04006 1C209D06
	v_pk_mul_f32 v[4:5], v[4:5], v[96:97]                      // 00000000C478: D3B14004 1802C104
	v_pk_mul_f32 v[6:7], v[6:7], v[98:99]                      // 00000000C480: D3B14006 1802C506
	v_pk_mul_f32 v[4:5], v[4:5], s[60:61]                      // 00000000C488: D3B14004 18007904
	v_pk_mul_f32 v[6:7], v[6:7], s[60:61]                      // 00000000C490: D3B14006 18007906
	v_exp_f32_e32 v4, v4                                       // 00000000C498: 7E084104
	v_exp_f32_e32 v5, v5                                       // 00000000C49C: 7E0A4105
	v_exp_f32_e32 v6, v6                                       // 00000000C4A0: 7E0C4106
	v_exp_f32_e32 v7, v7                                       // 00000000C4A4: 7E0E4107
	v_add_f32_e64 v4, v4, 1.0                                  // 00000000C4A8: D1010004 0001E504
	v_add_f32_e64 v5, v5, 1.0                                  // 00000000C4B0: D1010005 0001E505
	v_add_f32_e64 v6, v6, 1.0                                  // 00000000C4B8: D1010006 0001E506
	v_add_f32_e64 v7, v7, 1.0                                  // 00000000C4C0: D1010007 0001E507
	v_rcp_f32_e32 v4, v4                                       // 00000000C4C8: 7E084504
	v_rcp_f32_e32 v5, v5                                       // 00000000C4CC: 7E0A4505
	v_rcp_f32_e32 v6, v6                                       // 00000000C4D0: 7E0C4506
	v_rcp_f32_e32 v7, v7                                       // 00000000C4D4: 7E0E4507
	v_mul_f32_e32 v96, v96, v4                                 // 00000000C4D8: 0AC00960
	v_mul_f32_e32 v97, v97, v5                                 // 00000000C4DC: 0AC20B61
	v_mul_f32_e32 v98, v98, v6                                 // 00000000C4E0: 0AC40D62
	v_mul_f32_e32 v99, v99, v7                                 // 00000000C4E4: 0AC60F63
	v_mul_f32_e32 v96, v96, v152                               // 00000000C4E8: 0AC13160
	v_mul_f32_e32 v97, v97, v153                               // 00000000C4EC: 0AC33361
	v_mul_f32_e32 v98, v98, v154                               // 00000000C4F0: 0AC53562
	v_mul_f32_e32 v99, v99, v155                               // 00000000C4F4: 0AC73763
	v_pk_mul_f32 v[4:5], v[100:101], v[100:101]                // 00000000C4F8: D3B14004 1802C964
	v_pk_mul_f32 v[6:7], v[102:103], v[102:103]                // 00000000C500: D3B14006 1802CD66
	v_pk_fma_f32 v[4:5], v[4:5], s[78:79], v[8:9]              // 00000000C508: D3B04004 1C209D04
	v_pk_fma_f32 v[6:7], v[6:7], s[78:79], v[8:9]              // 00000000C510: D3B04006 1C209D06
	v_pk_mul_f32 v[4:5], v[4:5], v[100:101]                    // 00000000C518: D3B14004 1802C904
	v_pk_mul_f32 v[6:7], v[6:7], v[102:103]                    // 00000000C520: D3B14006 1802CD06
	v_pk_mul_f32 v[4:5], v[4:5], s[60:61]                      // 00000000C528: D3B14004 18007904
	v_pk_mul_f32 v[6:7], v[6:7], s[60:61]                      // 00000000C530: D3B14006 18007906
	v_exp_f32_e32 v4, v4                                       // 00000000C538: 7E084104
	v_exp_f32_e32 v5, v5                                       // 00000000C53C: 7E0A4105
	v_exp_f32_e32 v6, v6                                       // 00000000C540: 7E0C4106
	v_exp_f32_e32 v7, v7                                       // 00000000C544: 7E0E4107
	v_add_f32_e64 v4, v4, 1.0                                  // 00000000C548: D1010004 0001E504
	v_add_f32_e64 v5, v5, 1.0                                  // 00000000C550: D1010005 0001E505
	v_add_f32_e64 v6, v6, 1.0                                  // 00000000C558: D1010006 0001E506
	v_add_f32_e64 v7, v7, 1.0                                  // 00000000C560: D1010007 0001E507
	v_rcp_f32_e32 v4, v4                                       // 00000000C568: 7E084504
	v_rcp_f32_e32 v5, v5                                       // 00000000C56C: 7E0A4505
	v_rcp_f32_e32 v6, v6                                       // 00000000C570: 7E0C4506
	v_rcp_f32_e32 v7, v7                                       // 00000000C574: 7E0E4507
	v_mul_f32_e32 v100, v100, v4                               // 00000000C578: 0AC80964
	v_mul_f32_e32 v101, v101, v5                               // 00000000C57C: 0ACA0B65
	v_mul_f32_e32 v102, v102, v6                               // 00000000C580: 0ACC0D66
	v_mul_f32_e32 v103, v103, v7                               // 00000000C584: 0ACE0F67
	v_mul_f32_e32 v100, v100, v156                             // 00000000C588: 0AC93964
	v_mul_f32_e32 v101, v101, v157                             // 00000000C58C: 0ACB3B65
	v_mul_f32_e32 v102, v102, v158                             // 00000000C590: 0ACD3D66
	v_mul_f32_e32 v103, v103, v159                             // 00000000C594: 0ACF3F67
	v_pk_mul_f32 v[4:5], v[104:105], v[104:105]                // 00000000C598: D3B14004 1802D168
	v_pk_mul_f32 v[6:7], v[106:107], v[106:107]                // 00000000C5A0: D3B14006 1802D56A
	v_pk_fma_f32 v[4:5], v[4:5], s[78:79], v[8:9]              // 00000000C5A8: D3B04004 1C209D04
	v_pk_fma_f32 v[6:7], v[6:7], s[78:79], v[8:9]              // 00000000C5B0: D3B04006 1C209D06
	v_pk_mul_f32 v[4:5], v[4:5], v[104:105]                    // 00000000C5B8: D3B14004 1802D104
	v_pk_mul_f32 v[6:7], v[6:7], v[106:107]                    // 00000000C5C0: D3B14006 1802D506
	v_pk_mul_f32 v[4:5], v[4:5], s[60:61]                      // 00000000C5C8: D3B14004 18007904
	v_pk_mul_f32 v[6:7], v[6:7], s[60:61]                      // 00000000C5D0: D3B14006 18007906
	v_exp_f32_e32 v4, v4                                       // 00000000C5D8: 7E084104
	v_exp_f32_e32 v5, v5                                       // 00000000C5DC: 7E0A4105
	v_exp_f32_e32 v6, v6                                       // 00000000C5E0: 7E0C4106
	v_exp_f32_e32 v7, v7                                       // 00000000C5E4: 7E0E4107
	v_add_f32_e64 v4, v4, 1.0                                  // 00000000C5E8: D1010004 0001E504
	v_add_f32_e64 v5, v5, 1.0                                  // 00000000C5F0: D1010005 0001E505
	v_add_f32_e64 v6, v6, 1.0                                  // 00000000C5F8: D1010006 0001E506
	v_add_f32_e64 v7, v7, 1.0                                  // 00000000C600: D1010007 0001E507
	v_rcp_f32_e32 v4, v4                                       // 00000000C608: 7E084504
	v_rcp_f32_e32 v5, v5                                       // 00000000C60C: 7E0A4505
	v_rcp_f32_e32 v6, v6                                       // 00000000C610: 7E0C4506
	v_rcp_f32_e32 v7, v7                                       // 00000000C614: 7E0E4507
	v_mul_f32_e32 v104, v104, v4                               // 00000000C618: 0AD00968
	v_mul_f32_e32 v105, v105, v5                               // 00000000C61C: 0AD20B69
	v_mul_f32_e32 v106, v106, v6                               // 00000000C620: 0AD40D6A
	v_mul_f32_e32 v107, v107, v7                               // 00000000C624: 0AD60F6B
	v_mul_f32_e32 v104, v104, v160                             // 00000000C628: 0AD14168
	v_mul_f32_e32 v105, v105, v161                             // 00000000C62C: 0AD34369
	v_mul_f32_e32 v106, v106, v162                             // 00000000C630: 0AD5456A
	v_mul_f32_e32 v107, v107, v163                             // 00000000C634: 0AD7476B
	v_pk_mul_f32 v[4:5], v[108:109], v[108:109]                // 00000000C638: D3B14004 1802D96C
	v_pk_mul_f32 v[6:7], v[110:111], v[110:111]                // 00000000C640: D3B14006 1802DD6E
	v_pk_fma_f32 v[4:5], v[4:5], s[78:79], v[8:9]              // 00000000C648: D3B04004 1C209D04
	v_pk_fma_f32 v[6:7], v[6:7], s[78:79], v[8:9]              // 00000000C650: D3B04006 1C209D06
	v_pk_mul_f32 v[4:5], v[4:5], v[108:109]                    // 00000000C658: D3B14004 1802D904
	v_pk_mul_f32 v[6:7], v[6:7], v[110:111]                    // 00000000C660: D3B14006 1802DD06
	v_pk_mul_f32 v[4:5], v[4:5], s[60:61]                      // 00000000C668: D3B14004 18007904
	v_pk_mul_f32 v[6:7], v[6:7], s[60:61]                      // 00000000C670: D3B14006 18007906
	v_exp_f32_e32 v4, v4                                       // 00000000C678: 7E084104
	v_exp_f32_e32 v5, v5                                       // 00000000C67C: 7E0A4105
	v_exp_f32_e32 v6, v6                                       // 00000000C680: 7E0C4106
	v_exp_f32_e32 v7, v7                                       // 00000000C684: 7E0E4107
	v_add_f32_e64 v4, v4, 1.0                                  // 00000000C688: D1010004 0001E504
	v_add_f32_e64 v5, v5, 1.0                                  // 00000000C690: D1010005 0001E505
	v_add_f32_e64 v6, v6, 1.0                                  // 00000000C698: D1010006 0001E506
	v_add_f32_e64 v7, v7, 1.0                                  // 00000000C6A0: D1010007 0001E507
	v_rcp_f32_e32 v4, v4                                       // 00000000C6A8: 7E084504
	v_rcp_f32_e32 v5, v5                                       // 00000000C6AC: 7E0A4505
	v_rcp_f32_e32 v6, v6                                       // 00000000C6B0: 7E0C4506
	v_rcp_f32_e32 v7, v7                                       // 00000000C6B4: 7E0E4507
	v_mul_f32_e32 v108, v108, v4                               // 00000000C6B8: 0AD8096C
	v_mul_f32_e32 v109, v109, v5                               // 00000000C6BC: 0ADA0B6D
	v_mul_f32_e32 v110, v110, v6                               // 00000000C6C0: 0ADC0D6E
	v_mul_f32_e32 v111, v111, v7                               // 00000000C6C4: 0ADE0F6F
	v_mul_f32_e32 v108, v108, v164                             // 00000000C6C8: 0AD9496C
	v_mul_f32_e32 v109, v109, v165                             // 00000000C6CC: 0ADB4B6D
	v_mul_f32_e32 v110, v110, v166                             // 00000000C6D0: 0ADD4D6E
	v_mul_f32_e32 v111, v111, v167                             // 00000000C6D4: 0ADF4F6F
	v_pk_mul_f32 v[4:5], v[112:113], v[112:113]                // 00000000C6D8: D3B14004 1802E170
	v_pk_mul_f32 v[6:7], v[114:115], v[114:115]                // 00000000C6E0: D3B14006 1802E572
	v_pk_fma_f32 v[4:5], v[4:5], s[78:79], v[8:9]              // 00000000C6E8: D3B04004 1C209D04
	v_pk_fma_f32 v[6:7], v[6:7], s[78:79], v[8:9]              // 00000000C6F0: D3B04006 1C209D06
	v_pk_mul_f32 v[4:5], v[4:5], v[112:113]                    // 00000000C6F8: D3B14004 1802E104
	v_pk_mul_f32 v[6:7], v[6:7], v[114:115]                    // 00000000C700: D3B14006 1802E506
	v_pk_mul_f32 v[4:5], v[4:5], s[60:61]                      // 00000000C708: D3B14004 18007904
	v_pk_mul_f32 v[6:7], v[6:7], s[60:61]                      // 00000000C710: D3B14006 18007906
	v_exp_f32_e32 v4, v4                                       // 00000000C718: 7E084104
	v_exp_f32_e32 v5, v5                                       // 00000000C71C: 7E0A4105
	v_exp_f32_e32 v6, v6                                       // 00000000C720: 7E0C4106
	v_exp_f32_e32 v7, v7                                       // 00000000C724: 7E0E4107
	v_add_f32_e64 v4, v4, 1.0                                  // 00000000C728: D1010004 0001E504
	v_add_f32_e64 v5, v5, 1.0                                  // 00000000C730: D1010005 0001E505
	v_add_f32_e64 v6, v6, 1.0                                  // 00000000C738: D1010006 0001E506
	v_add_f32_e64 v7, v7, 1.0                                  // 00000000C740: D1010007 0001E507
	v_rcp_f32_e32 v4, v4                                       // 00000000C748: 7E084504
	v_rcp_f32_e32 v5, v5                                       // 00000000C74C: 7E0A4505
	v_rcp_f32_e32 v6, v6                                       // 00000000C750: 7E0C4506
	v_rcp_f32_e32 v7, v7                                       // 00000000C754: 7E0E4507
	v_mul_f32_e32 v112, v112, v4                               // 00000000C758: 0AE00970
	v_mul_f32_e32 v113, v113, v5                               // 00000000C75C: 0AE20B71
	v_mul_f32_e32 v114, v114, v6                               // 00000000C760: 0AE40D72
	v_mul_f32_e32 v115, v115, v7                               // 00000000C764: 0AE60F73
	v_mul_f32_e32 v112, v112, v168                             // 00000000C768: 0AE15170
	v_mul_f32_e32 v113, v113, v169                             // 00000000C76C: 0AE35371
	v_mul_f32_e32 v114, v114, v170                             // 00000000C770: 0AE55572
	v_mul_f32_e32 v115, v115, v171                             // 00000000C774: 0AE75773
	v_pk_mul_f32 v[4:5], v[116:117], v[116:117]                // 00000000C778: D3B14004 1802E974
	v_pk_mul_f32 v[6:7], v[118:119], v[118:119]                // 00000000C780: D3B14006 1802ED76
	v_pk_fma_f32 v[4:5], v[4:5], s[78:79], v[8:9]              // 00000000C788: D3B04004 1C209D04
	v_pk_fma_f32 v[6:7], v[6:7], s[78:79], v[8:9]              // 00000000C790: D3B04006 1C209D06
	v_pk_mul_f32 v[4:5], v[4:5], v[116:117]                    // 00000000C798: D3B14004 1802E904
	v_pk_mul_f32 v[6:7], v[6:7], v[118:119]                    // 00000000C7A0: D3B14006 1802ED06
	v_pk_mul_f32 v[4:5], v[4:5], s[60:61]                      // 00000000C7A8: D3B14004 18007904
	v_pk_mul_f32 v[6:7], v[6:7], s[60:61]                      // 00000000C7B0: D3B14006 18007906
	v_exp_f32_e32 v4, v4                                       // 00000000C7B8: 7E084104
	v_exp_f32_e32 v5, v5                                       // 00000000C7BC: 7E0A4105
	v_exp_f32_e32 v6, v6                                       // 00000000C7C0: 7E0C4106
	v_exp_f32_e32 v7, v7                                       // 00000000C7C4: 7E0E4107
	v_add_f32_e64 v4, v4, 1.0                                  // 00000000C7C8: D1010004 0001E504
	v_add_f32_e64 v5, v5, 1.0                                  // 00000000C7D0: D1010005 0001E505
	v_add_f32_e64 v6, v6, 1.0                                  // 00000000C7D8: D1010006 0001E506
	v_add_f32_e64 v7, v7, 1.0                                  // 00000000C7E0: D1010007 0001E507
	v_rcp_f32_e32 v4, v4                                       // 00000000C7E8: 7E084504
	v_rcp_f32_e32 v5, v5                                       // 00000000C7EC: 7E0A4505
	v_rcp_f32_e32 v6, v6                                       // 00000000C7F0: 7E0C4506
	v_rcp_f32_e32 v7, v7                                       // 00000000C7F4: 7E0E4507
	v_mul_f32_e32 v116, v116, v4                               // 00000000C7F8: 0AE80974
	v_mul_f32_e32 v117, v117, v5                               // 00000000C7FC: 0AEA0B75
	v_mul_f32_e32 v118, v118, v6                               // 00000000C800: 0AEC0D76
	v_mul_f32_e32 v119, v119, v7                               // 00000000C804: 0AEE0F77
	v_mul_f32_e32 v116, v116, v172                             // 00000000C808: 0AE95974
	v_mul_f32_e32 v117, v117, v173                             // 00000000C80C: 0AEB5B75
	v_mul_f32_e32 v118, v118, v174                             // 00000000C810: 0AED5D76
	v_mul_f32_e32 v119, v119, v175                             // 00000000C814: 0AEF5F77
	v_pk_mul_f32 v[4:5], v[120:121], v[120:121]                // 00000000C818: D3B14004 1802F178
	v_pk_mul_f32 v[6:7], v[122:123], v[122:123]                // 00000000C820: D3B14006 1802F57A
	v_pk_fma_f32 v[4:5], v[4:5], s[78:79], v[8:9]              // 00000000C828: D3B04004 1C209D04
	v_pk_fma_f32 v[6:7], v[6:7], s[78:79], v[8:9]              // 00000000C830: D3B04006 1C209D06
	v_pk_mul_f32 v[4:5], v[4:5], v[120:121]                    // 00000000C838: D3B14004 1802F104
	v_pk_mul_f32 v[6:7], v[6:7], v[122:123]                    // 00000000C840: D3B14006 1802F506
	v_pk_mul_f32 v[4:5], v[4:5], s[60:61]                      // 00000000C848: D3B14004 18007904
	v_pk_mul_f32 v[6:7], v[6:7], s[60:61]                      // 00000000C850: D3B14006 18007906
	v_exp_f32_e32 v4, v4                                       // 00000000C858: 7E084104
	v_exp_f32_e32 v5, v5                                       // 00000000C85C: 7E0A4105
	v_exp_f32_e32 v6, v6                                       // 00000000C860: 7E0C4106
	v_exp_f32_e32 v7, v7                                       // 00000000C864: 7E0E4107
	v_add_f32_e64 v4, v4, 1.0                                  // 00000000C868: D1010004 0001E504
	v_add_f32_e64 v5, v5, 1.0                                  // 00000000C870: D1010005 0001E505
	v_add_f32_e64 v6, v6, 1.0                                  // 00000000C878: D1010006 0001E506
	v_add_f32_e64 v7, v7, 1.0                                  // 00000000C880: D1010007 0001E507
	v_rcp_f32_e32 v4, v4                                       // 00000000C888: 7E084504
	v_rcp_f32_e32 v5, v5                                       // 00000000C88C: 7E0A4505
	v_rcp_f32_e32 v6, v6                                       // 00000000C890: 7E0C4506
	v_rcp_f32_e32 v7, v7                                       // 00000000C894: 7E0E4507
	v_mul_f32_e32 v120, v120, v4                               // 00000000C898: 0AF00978
	v_mul_f32_e32 v121, v121, v5                               // 00000000C89C: 0AF20B79
	v_mul_f32_e32 v122, v122, v6                               // 00000000C8A0: 0AF40D7A
	v_mul_f32_e32 v123, v123, v7                               // 00000000C8A4: 0AF60F7B
	v_mul_f32_e32 v120, v120, v176                             // 00000000C8A8: 0AF16178
	v_mul_f32_e32 v121, v121, v177                             // 00000000C8AC: 0AF36379
	v_mul_f32_e32 v122, v122, v178                             // 00000000C8B0: 0AF5657A
	v_mul_f32_e32 v123, v123, v179                             // 00000000C8B4: 0AF7677B
	v_pk_mul_f32 v[4:5], v[124:125], v[124:125]                // 00000000C8B8: D3B14004 1802F97C
	v_pk_mul_f32 v[6:7], v[126:127], v[126:127]                // 00000000C8C0: D3B14006 1802FD7E
	v_pk_fma_f32 v[4:5], v[4:5], s[78:79], v[8:9]              // 00000000C8C8: D3B04004 1C209D04
	v_pk_fma_f32 v[6:7], v[6:7], s[78:79], v[8:9]              // 00000000C8D0: D3B04006 1C209D06
	v_pk_mul_f32 v[4:5], v[4:5], v[124:125]                    // 00000000C8D8: D3B14004 1802F904
	v_pk_mul_f32 v[6:7], v[6:7], v[126:127]                    // 00000000C8E0: D3B14006 1802FD06
	v_pk_mul_f32 v[4:5], v[4:5], s[60:61]                      // 00000000C8E8: D3B14004 18007904
	v_pk_mul_f32 v[6:7], v[6:7], s[60:61]                      // 00000000C8F0: D3B14006 18007906
	v_exp_f32_e32 v4, v4                                       // 00000000C8F8: 7E084104
	v_exp_f32_e32 v5, v5                                       // 00000000C8FC: 7E0A4105
	v_exp_f32_e32 v6, v6                                       // 00000000C900: 7E0C4106
	v_exp_f32_e32 v7, v7                                       // 00000000C904: 7E0E4107
	v_add_f32_e64 v4, v4, 1.0                                  // 00000000C908: D1010004 0001E504
	v_add_f32_e64 v5, v5, 1.0                                  // 00000000C910: D1010005 0001E505
	v_add_f32_e64 v6, v6, 1.0                                  // 00000000C918: D1010006 0001E506
	v_add_f32_e64 v7, v7, 1.0                                  // 00000000C920: D1010007 0001E507
	v_rcp_f32_e32 v4, v4                                       // 00000000C928: 7E084504
	v_rcp_f32_e32 v5, v5                                       // 00000000C92C: 7E0A4505
	v_rcp_f32_e32 v6, v6                                       // 00000000C930: 7E0C4506
	v_rcp_f32_e32 v7, v7                                       // 00000000C934: 7E0E4507
	v_mul_f32_e32 v124, v124, v4                               // 00000000C938: 0AF8097C
	v_mul_f32_e32 v125, v125, v5                               // 00000000C93C: 0AFA0B7D
	v_mul_f32_e32 v126, v126, v6                               // 00000000C940: 0AFC0D7E
	v_mul_f32_e32 v127, v127, v7                               // 00000000C944: 0AFE0F7F
	v_mul_f32_e32 v124, v124, v180                             // 00000000C948: 0AF9697C
	v_mul_f32_e32 v125, v125, v181                             // 00000000C94C: 0AFB6B7D
	v_mul_f32_e32 v126, v126, v182                             // 00000000C950: 0AFD6D7E
	v_mul_f32_e32 v127, v127, v183                             // 00000000C954: 0AFF6F7F
	v_pk_mul_f32 v[4:5], v[128:129], v[128:129]                // 00000000C958: D3B14004 18030180
	v_pk_mul_f32 v[6:7], v[130:131], v[130:131]                // 00000000C960: D3B14006 18030582
	v_pk_fma_f32 v[4:5], v[4:5], s[78:79], v[8:9]              // 00000000C968: D3B04004 1C209D04
	v_pk_fma_f32 v[6:7], v[6:7], s[78:79], v[8:9]              // 00000000C970: D3B04006 1C209D06
	v_pk_mul_f32 v[4:5], v[4:5], v[128:129]                    // 00000000C978: D3B14004 18030104
	v_pk_mul_f32 v[6:7], v[6:7], v[130:131]                    // 00000000C980: D3B14006 18030506
	v_pk_mul_f32 v[4:5], v[4:5], s[60:61]                      // 00000000C988: D3B14004 18007904
	v_pk_mul_f32 v[6:7], v[6:7], s[60:61]                      // 00000000C990: D3B14006 18007906
	v_exp_f32_e32 v4, v4                                       // 00000000C998: 7E084104
	v_exp_f32_e32 v5, v5                                       // 00000000C99C: 7E0A4105
	v_exp_f32_e32 v6, v6                                       // 00000000C9A0: 7E0C4106
	v_exp_f32_e32 v7, v7                                       // 00000000C9A4: 7E0E4107
	v_add_f32_e64 v4, v4, 1.0                                  // 00000000C9A8: D1010004 0001E504
	v_add_f32_e64 v5, v5, 1.0                                  // 00000000C9B0: D1010005 0001E505
	v_add_f32_e64 v6, v6, 1.0                                  // 00000000C9B8: D1010006 0001E506
	v_add_f32_e64 v7, v7, 1.0                                  // 00000000C9C0: D1010007 0001E507
	v_rcp_f32_e32 v4, v4                                       // 00000000C9C8: 7E084504
	v_rcp_f32_e32 v5, v5                                       // 00000000C9CC: 7E0A4505
	v_rcp_f32_e32 v6, v6                                       // 00000000C9D0: 7E0C4506
	v_rcp_f32_e32 v7, v7                                       // 00000000C9D4: 7E0E4507
	v_mul_f32_e32 v128, v128, v4                               // 00000000C9D8: 0B000980
	v_mul_f32_e32 v129, v129, v5                               // 00000000C9DC: 0B020B81
	v_mul_f32_e32 v130, v130, v6                               // 00000000C9E0: 0B040D82
	v_mul_f32_e32 v131, v131, v7                               // 00000000C9E4: 0B060F83
	v_mul_f32_e32 v128, v128, v184                             // 00000000C9E8: 0B017180
	v_mul_f32_e32 v129, v129, v185                             // 00000000C9EC: 0B037381
	v_mul_f32_e32 v130, v130, v186                             // 00000000C9F0: 0B057582
	v_mul_f32_e32 v131, v131, v187                             // 00000000C9F4: 0B077783
	s_branch label_29C2                                        // 00000000C9F8: BF8201C0

000000000000c9fc <label_2802>:
	v_mul_f32_e64 v4, -v76, s6                                 // 00000000C9FC: D1050004 20000D4C
	v_mul_f32_e64 v5, -v77, s6                                 // 00000000CA04: D1050005 20000D4D
	v_mul_f32_e64 v6, -v78, s6                                 // 00000000CA0C: D1050006 20000D4E
	v_mul_f32_e64 v7, -v79, s6                                 // 00000000CA14: D1050007 20000D4F
	v_exp_f32_e32 v4, v4                                       // 00000000CA1C: 7E084104
	v_exp_f32_e32 v5, v5                                       // 00000000CA20: 7E0A4105
	v_exp_f32_e32 v6, v6                                       // 00000000CA24: 7E0C4106
	v_exp_f32_e32 v7, v7                                       // 00000000CA28: 7E0E4107
	v_add_f32_e64 v4, v4, 1.0                                  // 00000000CA2C: D1010004 0001E504
	v_add_f32_e64 v5, v5, 1.0                                  // 00000000CA34: D1010005 0001E505
	v_add_f32_e64 v6, v6, 1.0                                  // 00000000CA3C: D1010006 0001E506
	v_add_f32_e64 v7, v7, 1.0                                  // 00000000CA44: D1010007 0001E507
	v_rcp_f32_e32 v4, v4                                       // 00000000CA4C: 7E084504
	v_rcp_f32_e32 v5, v5                                       // 00000000CA50: 7E0A4505
	v_rcp_f32_e32 v6, v6                                       // 00000000CA54: 7E0C4506
	v_rcp_f32_e32 v7, v7                                       // 00000000CA58: 7E0E4507
	v_mul_f32_e32 v76, v76, v4                                 // 00000000CA5C: 0A98094C
	v_mul_f32_e32 v77, v77, v5                                 // 00000000CA60: 0A9A0B4D
	v_mul_f32_e32 v78, v78, v6                                 // 00000000CA64: 0A9C0D4E
	v_mul_f32_e32 v79, v79, v7                                 // 00000000CA68: 0A9E0F4F
	v_mul_f32_e32 v76, v76, v132                               // 00000000CA6C: 0A99094C
	v_mul_f32_e32 v77, v77, v133                               // 00000000CA70: 0A9B0B4D
	v_mul_f32_e32 v78, v78, v134                               // 00000000CA74: 0A9D0D4E
	v_mul_f32_e32 v79, v79, v135                               // 00000000CA78: 0A9F0F4F
	v_mul_f32_e64 v4, -v80, s6                                 // 00000000CA7C: D1050004 20000D50
	v_mul_f32_e64 v5, -v81, s6                                 // 00000000CA84: D1050005 20000D51
	v_mul_f32_e64 v6, -v82, s6                                 // 00000000CA8C: D1050006 20000D52
	v_mul_f32_e64 v7, -v83, s6                                 // 00000000CA94: D1050007 20000D53
	v_exp_f32_e32 v4, v4                                       // 00000000CA9C: 7E084104
	v_exp_f32_e32 v5, v5                                       // 00000000CAA0: 7E0A4105
	v_exp_f32_e32 v6, v6                                       // 00000000CAA4: 7E0C4106
	v_exp_f32_e32 v7, v7                                       // 00000000CAA8: 7E0E4107
	v_add_f32_e64 v4, v4, 1.0                                  // 00000000CAAC: D1010004 0001E504
	v_add_f32_e64 v5, v5, 1.0                                  // 00000000CAB4: D1010005 0001E505
	v_add_f32_e64 v6, v6, 1.0                                  // 00000000CABC: D1010006 0001E506
	v_add_f32_e64 v7, v7, 1.0                                  // 00000000CAC4: D1010007 0001E507
	v_rcp_f32_e32 v4, v4                                       // 00000000CACC: 7E084504
	v_rcp_f32_e32 v5, v5                                       // 00000000CAD0: 7E0A4505
	v_rcp_f32_e32 v6, v6                                       // 00000000CAD4: 7E0C4506
	v_rcp_f32_e32 v7, v7                                       // 00000000CAD8: 7E0E4507
	v_mul_f32_e32 v80, v80, v4                                 // 00000000CADC: 0AA00950
	v_mul_f32_e32 v81, v81, v5                                 // 00000000CAE0: 0AA20B51
	v_mul_f32_e32 v82, v82, v6                                 // 00000000CAE4: 0AA40D52
	v_mul_f32_e32 v83, v83, v7                                 // 00000000CAE8: 0AA60F53
	v_mul_f32_e32 v80, v80, v136                               // 00000000CAEC: 0AA11150
	v_mul_f32_e32 v81, v81, v137                               // 00000000CAF0: 0AA31351
	v_mul_f32_e32 v82, v82, v138                               // 00000000CAF4: 0AA51552
	v_mul_f32_e32 v83, v83, v139                               // 00000000CAF8: 0AA71753
	v_mul_f32_e64 v4, -v84, s6                                 // 00000000CAFC: D1050004 20000D54
	v_mul_f32_e64 v5, -v85, s6                                 // 00000000CB04: D1050005 20000D55
	v_mul_f32_e64 v6, -v86, s6                                 // 00000000CB0C: D1050006 20000D56
	v_mul_f32_e64 v7, -v87, s6                                 // 00000000CB14: D1050007 20000D57
	v_exp_f32_e32 v4, v4                                       // 00000000CB1C: 7E084104
	v_exp_f32_e32 v5, v5                                       // 00000000CB20: 7E0A4105
	v_exp_f32_e32 v6, v6                                       // 00000000CB24: 7E0C4106
	v_exp_f32_e32 v7, v7                                       // 00000000CB28: 7E0E4107
	v_add_f32_e64 v4, v4, 1.0                                  // 00000000CB2C: D1010004 0001E504
	v_add_f32_e64 v5, v5, 1.0                                  // 00000000CB34: D1010005 0001E505
	v_add_f32_e64 v6, v6, 1.0                                  // 00000000CB3C: D1010006 0001E506
	v_add_f32_e64 v7, v7, 1.0                                  // 00000000CB44: D1010007 0001E507
	v_rcp_f32_e32 v4, v4                                       // 00000000CB4C: 7E084504
	v_rcp_f32_e32 v5, v5                                       // 00000000CB50: 7E0A4505
	v_rcp_f32_e32 v6, v6                                       // 00000000CB54: 7E0C4506
	v_rcp_f32_e32 v7, v7                                       // 00000000CB58: 7E0E4507
	v_mul_f32_e32 v84, v84, v4                                 // 00000000CB5C: 0AA80954
	v_mul_f32_e32 v85, v85, v5                                 // 00000000CB60: 0AAA0B55
	v_mul_f32_e32 v86, v86, v6                                 // 00000000CB64: 0AAC0D56
	v_mul_f32_e32 v87, v87, v7                                 // 00000000CB68: 0AAE0F57
	v_mul_f32_e32 v84, v84, v140                               // 00000000CB6C: 0AA91954
	v_mul_f32_e32 v85, v85, v141                               // 00000000CB70: 0AAB1B55
	v_mul_f32_e32 v86, v86, v142                               // 00000000CB74: 0AAD1D56
	v_mul_f32_e32 v87, v87, v143                               // 00000000CB78: 0AAF1F57
	v_mul_f32_e64 v4, -v88, s6                                 // 00000000CB7C: D1050004 20000D58
	v_mul_f32_e64 v5, -v89, s6                                 // 00000000CB84: D1050005 20000D59
	v_mul_f32_e64 v6, -v90, s6                                 // 00000000CB8C: D1050006 20000D5A
	v_mul_f32_e64 v7, -v91, s6                                 // 00000000CB94: D1050007 20000D5B
	v_exp_f32_e32 v4, v4                                       // 00000000CB9C: 7E084104
	v_exp_f32_e32 v5, v5                                       // 00000000CBA0: 7E0A4105
	v_exp_f32_e32 v6, v6                                       // 00000000CBA4: 7E0C4106
	v_exp_f32_e32 v7, v7                                       // 00000000CBA8: 7E0E4107
	v_add_f32_e64 v4, v4, 1.0                                  // 00000000CBAC: D1010004 0001E504
	v_add_f32_e64 v5, v5, 1.0                                  // 00000000CBB4: D1010005 0001E505
	v_add_f32_e64 v6, v6, 1.0                                  // 00000000CBBC: D1010006 0001E506
	v_add_f32_e64 v7, v7, 1.0                                  // 00000000CBC4: D1010007 0001E507
	v_rcp_f32_e32 v4, v4                                       // 00000000CBCC: 7E084504
	v_rcp_f32_e32 v5, v5                                       // 00000000CBD0: 7E0A4505
	v_rcp_f32_e32 v6, v6                                       // 00000000CBD4: 7E0C4506
	v_rcp_f32_e32 v7, v7                                       // 00000000CBD8: 7E0E4507
	v_mul_f32_e32 v88, v88, v4                                 // 00000000CBDC: 0AB00958
	v_mul_f32_e32 v89, v89, v5                                 // 00000000CBE0: 0AB20B59
	v_mul_f32_e32 v90, v90, v6                                 // 00000000CBE4: 0AB40D5A
	v_mul_f32_e32 v91, v91, v7                                 // 00000000CBE8: 0AB60F5B
	v_mul_f32_e32 v88, v88, v144                               // 00000000CBEC: 0AB12158
	v_mul_f32_e32 v89, v89, v145                               // 00000000CBF0: 0AB32359
	v_mul_f32_e32 v90, v90, v146                               // 00000000CBF4: 0AB5255A
	v_mul_f32_e32 v91, v91, v147                               // 00000000CBF8: 0AB7275B
	v_mul_f32_e64 v4, -v92, s6                                 // 00000000CBFC: D1050004 20000D5C
	v_mul_f32_e64 v5, -v93, s6                                 // 00000000CC04: D1050005 20000D5D
	v_mul_f32_e64 v6, -v94, s6                                 // 00000000CC0C: D1050006 20000D5E
	v_mul_f32_e64 v7, -v95, s6                                 // 00000000CC14: D1050007 20000D5F
	v_exp_f32_e32 v4, v4                                       // 00000000CC1C: 7E084104
	v_exp_f32_e32 v5, v5                                       // 00000000CC20: 7E0A4105
	v_exp_f32_e32 v6, v6                                       // 00000000CC24: 7E0C4106
	v_exp_f32_e32 v7, v7                                       // 00000000CC28: 7E0E4107
	v_add_f32_e64 v4, v4, 1.0                                  // 00000000CC2C: D1010004 0001E504
	v_add_f32_e64 v5, v5, 1.0                                  // 00000000CC34: D1010005 0001E505
	v_add_f32_e64 v6, v6, 1.0                                  // 00000000CC3C: D1010006 0001E506
	v_add_f32_e64 v7, v7, 1.0                                  // 00000000CC44: D1010007 0001E507
	v_rcp_f32_e32 v4, v4                                       // 00000000CC4C: 7E084504
	v_rcp_f32_e32 v5, v5                                       // 00000000CC50: 7E0A4505
	v_rcp_f32_e32 v6, v6                                       // 00000000CC54: 7E0C4506
	v_rcp_f32_e32 v7, v7                                       // 00000000CC58: 7E0E4507
	v_mul_f32_e32 v92, v92, v4                                 // 00000000CC5C: 0AB8095C
	v_mul_f32_e32 v93, v93, v5                                 // 00000000CC60: 0ABA0B5D
	v_mul_f32_e32 v94, v94, v6                                 // 00000000CC64: 0ABC0D5E
	v_mul_f32_e32 v95, v95, v7                                 // 00000000CC68: 0ABE0F5F
	v_mul_f32_e32 v92, v92, v148                               // 00000000CC6C: 0AB9295C
	v_mul_f32_e32 v93, v93, v149                               // 00000000CC70: 0ABB2B5D
	v_mul_f32_e32 v94, v94, v150                               // 00000000CC74: 0ABD2D5E
	v_mul_f32_e32 v95, v95, v151                               // 00000000CC78: 0ABF2F5F
	v_mul_f32_e64 v4, -v96, s6                                 // 00000000CC7C: D1050004 20000D60
	v_mul_f32_e64 v5, -v97, s6                                 // 00000000CC84: D1050005 20000D61
	v_mul_f32_e64 v6, -v98, s6                                 // 00000000CC8C: D1050006 20000D62
	v_mul_f32_e64 v7, -v99, s6                                 // 00000000CC94: D1050007 20000D63
	v_exp_f32_e32 v4, v4                                       // 00000000CC9C: 7E084104
	v_exp_f32_e32 v5, v5                                       // 00000000CCA0: 7E0A4105
	v_exp_f32_e32 v6, v6                                       // 00000000CCA4: 7E0C4106
	v_exp_f32_e32 v7, v7                                       // 00000000CCA8: 7E0E4107
	v_add_f32_e64 v4, v4, 1.0                                  // 00000000CCAC: D1010004 0001E504
	v_add_f32_e64 v5, v5, 1.0                                  // 00000000CCB4: D1010005 0001E505
	v_add_f32_e64 v6, v6, 1.0                                  // 00000000CCBC: D1010006 0001E506
	v_add_f32_e64 v7, v7, 1.0                                  // 00000000CCC4: D1010007 0001E507
	v_rcp_f32_e32 v4, v4                                       // 00000000CCCC: 7E084504
	v_rcp_f32_e32 v5, v5                                       // 00000000CCD0: 7E0A4505
	v_rcp_f32_e32 v6, v6                                       // 00000000CCD4: 7E0C4506
	v_rcp_f32_e32 v7, v7                                       // 00000000CCD8: 7E0E4507
	v_mul_f32_e32 v96, v96, v4                                 // 00000000CCDC: 0AC00960
	v_mul_f32_e32 v97, v97, v5                                 // 00000000CCE0: 0AC20B61
	v_mul_f32_e32 v98, v98, v6                                 // 00000000CCE4: 0AC40D62
	v_mul_f32_e32 v99, v99, v7                                 // 00000000CCE8: 0AC60F63
	v_mul_f32_e32 v96, v96, v152                               // 00000000CCEC: 0AC13160
	v_mul_f32_e32 v97, v97, v153                               // 00000000CCF0: 0AC33361
	v_mul_f32_e32 v98, v98, v154                               // 00000000CCF4: 0AC53562
	v_mul_f32_e32 v99, v99, v155                               // 00000000CCF8: 0AC73763
	v_mul_f32_e64 v4, -v100, s6                                // 00000000CCFC: D1050004 20000D64
	v_mul_f32_e64 v5, -v101, s6                                // 00000000CD04: D1050005 20000D65
	v_mul_f32_e64 v6, -v102, s6                                // 00000000CD0C: D1050006 20000D66
	v_mul_f32_e64 v7, -v103, s6                                // 00000000CD14: D1050007 20000D67
	v_exp_f32_e32 v4, v4                                       // 00000000CD1C: 7E084104
	v_exp_f32_e32 v5, v5                                       // 00000000CD20: 7E0A4105
	v_exp_f32_e32 v6, v6                                       // 00000000CD24: 7E0C4106
	v_exp_f32_e32 v7, v7                                       // 00000000CD28: 7E0E4107
	v_add_f32_e64 v4, v4, 1.0                                  // 00000000CD2C: D1010004 0001E504
	v_add_f32_e64 v5, v5, 1.0                                  // 00000000CD34: D1010005 0001E505
	v_add_f32_e64 v6, v6, 1.0                                  // 00000000CD3C: D1010006 0001E506
	v_add_f32_e64 v7, v7, 1.0                                  // 00000000CD44: D1010007 0001E507
	v_rcp_f32_e32 v4, v4                                       // 00000000CD4C: 7E084504
	v_rcp_f32_e32 v5, v5                                       // 00000000CD50: 7E0A4505
	v_rcp_f32_e32 v6, v6                                       // 00000000CD54: 7E0C4506
	v_rcp_f32_e32 v7, v7                                       // 00000000CD58: 7E0E4507
	v_mul_f32_e32 v100, v100, v4                               // 00000000CD5C: 0AC80964
	v_mul_f32_e32 v101, v101, v5                               // 00000000CD60: 0ACA0B65
	v_mul_f32_e32 v102, v102, v6                               // 00000000CD64: 0ACC0D66
	v_mul_f32_e32 v103, v103, v7                               // 00000000CD68: 0ACE0F67
	v_mul_f32_e32 v100, v100, v156                             // 00000000CD6C: 0AC93964
	v_mul_f32_e32 v101, v101, v157                             // 00000000CD70: 0ACB3B65
	v_mul_f32_e32 v102, v102, v158                             // 00000000CD74: 0ACD3D66
	v_mul_f32_e32 v103, v103, v159                             // 00000000CD78: 0ACF3F67
	v_mul_f32_e64 v4, -v104, s6                                // 00000000CD7C: D1050004 20000D68
	v_mul_f32_e64 v5, -v105, s6                                // 00000000CD84: D1050005 20000D69
	v_mul_f32_e64 v6, -v106, s6                                // 00000000CD8C: D1050006 20000D6A
	v_mul_f32_e64 v7, -v107, s6                                // 00000000CD94: D1050007 20000D6B
	v_exp_f32_e32 v4, v4                                       // 00000000CD9C: 7E084104
	v_exp_f32_e32 v5, v5                                       // 00000000CDA0: 7E0A4105
	v_exp_f32_e32 v6, v6                                       // 00000000CDA4: 7E0C4106
	v_exp_f32_e32 v7, v7                                       // 00000000CDA8: 7E0E4107
	v_add_f32_e64 v4, v4, 1.0                                  // 00000000CDAC: D1010004 0001E504
	v_add_f32_e64 v5, v5, 1.0                                  // 00000000CDB4: D1010005 0001E505
	v_add_f32_e64 v6, v6, 1.0                                  // 00000000CDBC: D1010006 0001E506
	v_add_f32_e64 v7, v7, 1.0                                  // 00000000CDC4: D1010007 0001E507
	v_rcp_f32_e32 v4, v4                                       // 00000000CDCC: 7E084504
	v_rcp_f32_e32 v5, v5                                       // 00000000CDD0: 7E0A4505
	v_rcp_f32_e32 v6, v6                                       // 00000000CDD4: 7E0C4506
	v_rcp_f32_e32 v7, v7                                       // 00000000CDD8: 7E0E4507
	v_mul_f32_e32 v104, v104, v4                               // 00000000CDDC: 0AD00968
	v_mul_f32_e32 v105, v105, v5                               // 00000000CDE0: 0AD20B69
	v_mul_f32_e32 v106, v106, v6                               // 00000000CDE4: 0AD40D6A
	v_mul_f32_e32 v107, v107, v7                               // 00000000CDE8: 0AD60F6B
	v_mul_f32_e32 v104, v104, v160                             // 00000000CDEC: 0AD14168
	v_mul_f32_e32 v105, v105, v161                             // 00000000CDF0: 0AD34369
	v_mul_f32_e32 v106, v106, v162                             // 00000000CDF4: 0AD5456A
	v_mul_f32_e32 v107, v107, v163                             // 00000000CDF8: 0AD7476B
	v_mul_f32_e64 v4, -v108, s6                                // 00000000CDFC: D1050004 20000D6C
	v_mul_f32_e64 v5, -v109, s6                                // 00000000CE04: D1050005 20000D6D
	v_mul_f32_e64 v6, -v110, s6                                // 00000000CE0C: D1050006 20000D6E
	v_mul_f32_e64 v7, -v111, s6                                // 00000000CE14: D1050007 20000D6F
	v_exp_f32_e32 v4, v4                                       // 00000000CE1C: 7E084104
	v_exp_f32_e32 v5, v5                                       // 00000000CE20: 7E0A4105
	v_exp_f32_e32 v6, v6                                       // 00000000CE24: 7E0C4106
	v_exp_f32_e32 v7, v7                                       // 00000000CE28: 7E0E4107
	v_add_f32_e64 v4, v4, 1.0                                  // 00000000CE2C: D1010004 0001E504
	v_add_f32_e64 v5, v5, 1.0                                  // 00000000CE34: D1010005 0001E505
	v_add_f32_e64 v6, v6, 1.0                                  // 00000000CE3C: D1010006 0001E506
	v_add_f32_e64 v7, v7, 1.0                                  // 00000000CE44: D1010007 0001E507
	v_rcp_f32_e32 v4, v4                                       // 00000000CE4C: 7E084504
	v_rcp_f32_e32 v5, v5                                       // 00000000CE50: 7E0A4505
	v_rcp_f32_e32 v6, v6                                       // 00000000CE54: 7E0C4506
	v_rcp_f32_e32 v7, v7                                       // 00000000CE58: 7E0E4507
	v_mul_f32_e32 v108, v108, v4                               // 00000000CE5C: 0AD8096C
	v_mul_f32_e32 v109, v109, v5                               // 00000000CE60: 0ADA0B6D
	v_mul_f32_e32 v110, v110, v6                               // 00000000CE64: 0ADC0D6E
	v_mul_f32_e32 v111, v111, v7                               // 00000000CE68: 0ADE0F6F
	v_mul_f32_e32 v108, v108, v164                             // 00000000CE6C: 0AD9496C
	v_mul_f32_e32 v109, v109, v165                             // 00000000CE70: 0ADB4B6D
	v_mul_f32_e32 v110, v110, v166                             // 00000000CE74: 0ADD4D6E
	v_mul_f32_e32 v111, v111, v167                             // 00000000CE78: 0ADF4F6F
	v_mul_f32_e64 v4, -v112, s6                                // 00000000CE7C: D1050004 20000D70
	v_mul_f32_e64 v5, -v113, s6                                // 00000000CE84: D1050005 20000D71
	v_mul_f32_e64 v6, -v114, s6                                // 00000000CE8C: D1050006 20000D72
	v_mul_f32_e64 v7, -v115, s6                                // 00000000CE94: D1050007 20000D73
	v_exp_f32_e32 v4, v4                                       // 00000000CE9C: 7E084104
	v_exp_f32_e32 v5, v5                                       // 00000000CEA0: 7E0A4105
	v_exp_f32_e32 v6, v6                                       // 00000000CEA4: 7E0C4106
	v_exp_f32_e32 v7, v7                                       // 00000000CEA8: 7E0E4107
	v_add_f32_e64 v4, v4, 1.0                                  // 00000000CEAC: D1010004 0001E504
	v_add_f32_e64 v5, v5, 1.0                                  // 00000000CEB4: D1010005 0001E505
	v_add_f32_e64 v6, v6, 1.0                                  // 00000000CEBC: D1010006 0001E506
	v_add_f32_e64 v7, v7, 1.0                                  // 00000000CEC4: D1010007 0001E507
	v_rcp_f32_e32 v4, v4                                       // 00000000CECC: 7E084504
	v_rcp_f32_e32 v5, v5                                       // 00000000CED0: 7E0A4505
	v_rcp_f32_e32 v6, v6                                       // 00000000CED4: 7E0C4506
	v_rcp_f32_e32 v7, v7                                       // 00000000CED8: 7E0E4507
	v_mul_f32_e32 v112, v112, v4                               // 00000000CEDC: 0AE00970
	v_mul_f32_e32 v113, v113, v5                               // 00000000CEE0: 0AE20B71
	v_mul_f32_e32 v114, v114, v6                               // 00000000CEE4: 0AE40D72
	v_mul_f32_e32 v115, v115, v7                               // 00000000CEE8: 0AE60F73
	v_mul_f32_e32 v112, v112, v168                             // 00000000CEEC: 0AE15170
	v_mul_f32_e32 v113, v113, v169                             // 00000000CEF0: 0AE35371
	v_mul_f32_e32 v114, v114, v170                             // 00000000CEF4: 0AE55572
	v_mul_f32_e32 v115, v115, v171                             // 00000000CEF8: 0AE75773
	v_mul_f32_e64 v4, -v116, s6                                // 00000000CEFC: D1050004 20000D74
	v_mul_f32_e64 v5, -v117, s6                                // 00000000CF04: D1050005 20000D75
	v_mul_f32_e64 v6, -v118, s6                                // 00000000CF0C: D1050006 20000D76
	v_mul_f32_e64 v7, -v119, s6                                // 00000000CF14: D1050007 20000D77
	v_exp_f32_e32 v4, v4                                       // 00000000CF1C: 7E084104
	v_exp_f32_e32 v5, v5                                       // 00000000CF20: 7E0A4105
	v_exp_f32_e32 v6, v6                                       // 00000000CF24: 7E0C4106
	v_exp_f32_e32 v7, v7                                       // 00000000CF28: 7E0E4107
	v_add_f32_e64 v4, v4, 1.0                                  // 00000000CF2C: D1010004 0001E504
	v_add_f32_e64 v5, v5, 1.0                                  // 00000000CF34: D1010005 0001E505
	v_add_f32_e64 v6, v6, 1.0                                  // 00000000CF3C: D1010006 0001E506
	v_add_f32_e64 v7, v7, 1.0                                  // 00000000CF44: D1010007 0001E507
	v_rcp_f32_e32 v4, v4                                       // 00000000CF4C: 7E084504
	v_rcp_f32_e32 v5, v5                                       // 00000000CF50: 7E0A4505
	v_rcp_f32_e32 v6, v6                                       // 00000000CF54: 7E0C4506
	v_rcp_f32_e32 v7, v7                                       // 00000000CF58: 7E0E4507
	v_mul_f32_e32 v116, v116, v4                               // 00000000CF5C: 0AE80974
	v_mul_f32_e32 v117, v117, v5                               // 00000000CF60: 0AEA0B75
	v_mul_f32_e32 v118, v118, v6                               // 00000000CF64: 0AEC0D76
	v_mul_f32_e32 v119, v119, v7                               // 00000000CF68: 0AEE0F77
	v_mul_f32_e32 v116, v116, v172                             // 00000000CF6C: 0AE95974
	v_mul_f32_e32 v117, v117, v173                             // 00000000CF70: 0AEB5B75
	v_mul_f32_e32 v118, v118, v174                             // 00000000CF74: 0AED5D76
	v_mul_f32_e32 v119, v119, v175                             // 00000000CF78: 0AEF5F77
	v_mul_f32_e64 v4, -v120, s6                                // 00000000CF7C: D1050004 20000D78
	v_mul_f32_e64 v5, -v121, s6                                // 00000000CF84: D1050005 20000D79
	v_mul_f32_e64 v6, -v122, s6                                // 00000000CF8C: D1050006 20000D7A
	v_mul_f32_e64 v7, -v123, s6                                // 00000000CF94: D1050007 20000D7B
	v_exp_f32_e32 v4, v4                                       // 00000000CF9C: 7E084104
	v_exp_f32_e32 v5, v5                                       // 00000000CFA0: 7E0A4105
	v_exp_f32_e32 v6, v6                                       // 00000000CFA4: 7E0C4106
	v_exp_f32_e32 v7, v7                                       // 00000000CFA8: 7E0E4107
	v_add_f32_e64 v4, v4, 1.0                                  // 00000000CFAC: D1010004 0001E504
	v_add_f32_e64 v5, v5, 1.0                                  // 00000000CFB4: D1010005 0001E505
	v_add_f32_e64 v6, v6, 1.0                                  // 00000000CFBC: D1010006 0001E506
	v_add_f32_e64 v7, v7, 1.0                                  // 00000000CFC4: D1010007 0001E507
	v_rcp_f32_e32 v4, v4                                       // 00000000CFCC: 7E084504
	v_rcp_f32_e32 v5, v5                                       // 00000000CFD0: 7E0A4505
	v_rcp_f32_e32 v6, v6                                       // 00000000CFD4: 7E0C4506
	v_rcp_f32_e32 v7, v7                                       // 00000000CFD8: 7E0E4507
	v_mul_f32_e32 v120, v120, v4                               // 00000000CFDC: 0AF00978
	v_mul_f32_e32 v121, v121, v5                               // 00000000CFE0: 0AF20B79
	v_mul_f32_e32 v122, v122, v6                               // 00000000CFE4: 0AF40D7A
	v_mul_f32_e32 v123, v123, v7                               // 00000000CFE8: 0AF60F7B
	v_mul_f32_e32 v120, v120, v176                             // 00000000CFEC: 0AF16178
	v_mul_f32_e32 v121, v121, v177                             // 00000000CFF0: 0AF36379
	v_mul_f32_e32 v122, v122, v178                             // 00000000CFF4: 0AF5657A
	v_mul_f32_e32 v123, v123, v179                             // 00000000CFF8: 0AF7677B
	v_mul_f32_e64 v4, -v124, s6                                // 00000000CFFC: D1050004 20000D7C
	v_mul_f32_e64 v5, -v125, s6                                // 00000000D004: D1050005 20000D7D
	v_mul_f32_e64 v6, -v126, s6                                // 00000000D00C: D1050006 20000D7E
	v_mul_f32_e64 v7, -v127, s6                                // 00000000D014: D1050007 20000D7F
	v_exp_f32_e32 v4, v4                                       // 00000000D01C: 7E084104
	v_exp_f32_e32 v5, v5                                       // 00000000D020: 7E0A4105
	v_exp_f32_e32 v6, v6                                       // 00000000D024: 7E0C4106
	v_exp_f32_e32 v7, v7                                       // 00000000D028: 7E0E4107
	v_add_f32_e64 v4, v4, 1.0                                  // 00000000D02C: D1010004 0001E504
	v_add_f32_e64 v5, v5, 1.0                                  // 00000000D034: D1010005 0001E505
	v_add_f32_e64 v6, v6, 1.0                                  // 00000000D03C: D1010006 0001E506
	v_add_f32_e64 v7, v7, 1.0                                  // 00000000D044: D1010007 0001E507
	v_rcp_f32_e32 v4, v4                                       // 00000000D04C: 7E084504
	v_rcp_f32_e32 v5, v5                                       // 00000000D050: 7E0A4505
	v_rcp_f32_e32 v6, v6                                       // 00000000D054: 7E0C4506
	v_rcp_f32_e32 v7, v7                                       // 00000000D058: 7E0E4507
	v_mul_f32_e32 v124, v124, v4                               // 00000000D05C: 0AF8097C
	v_mul_f32_e32 v125, v125, v5                               // 00000000D060: 0AFA0B7D
	v_mul_f32_e32 v126, v126, v6                               // 00000000D064: 0AFC0D7E
	v_mul_f32_e32 v127, v127, v7                               // 00000000D068: 0AFE0F7F
	v_mul_f32_e32 v124, v124, v180                             // 00000000D06C: 0AF9697C
	v_mul_f32_e32 v125, v125, v181                             // 00000000D070: 0AFB6B7D
	v_mul_f32_e32 v126, v126, v182                             // 00000000D074: 0AFD6D7E
	v_mul_f32_e32 v127, v127, v183                             // 00000000D078: 0AFF6F7F
	v_mul_f32_e64 v4, -v128, s6                                // 00000000D07C: D1050004 20000D80
	v_mul_f32_e64 v5, -v129, s6                                // 00000000D084: D1050005 20000D81
	v_mul_f32_e64 v6, -v130, s6                                // 00000000D08C: D1050006 20000D82
	v_mul_f32_e64 v7, -v131, s6                                // 00000000D094: D1050007 20000D83
	v_exp_f32_e32 v4, v4                                       // 00000000D09C: 7E084104
	v_exp_f32_e32 v5, v5                                       // 00000000D0A0: 7E0A4105
	v_exp_f32_e32 v6, v6                                       // 00000000D0A4: 7E0C4106
	v_exp_f32_e32 v7, v7                                       // 00000000D0A8: 7E0E4107
	v_add_f32_e64 v4, v4, 1.0                                  // 00000000D0AC: D1010004 0001E504
	v_add_f32_e64 v5, v5, 1.0                                  // 00000000D0B4: D1010005 0001E505
	v_add_f32_e64 v6, v6, 1.0                                  // 00000000D0BC: D1010006 0001E506
	v_add_f32_e64 v7, v7, 1.0                                  // 00000000D0C4: D1010007 0001E507
	v_rcp_f32_e32 v4, v4                                       // 00000000D0CC: 7E084504
	v_rcp_f32_e32 v5, v5                                       // 00000000D0D0: 7E0A4505
	v_rcp_f32_e32 v6, v6                                       // 00000000D0D4: 7E0C4506
	v_rcp_f32_e32 v7, v7                                       // 00000000D0D8: 7E0E4507
	v_mul_f32_e32 v128, v128, v4                               // 00000000D0DC: 0B000980
	v_mul_f32_e32 v129, v129, v5                               // 00000000D0E0: 0B020B81
	v_mul_f32_e32 v130, v130, v6                               // 00000000D0E4: 0B040D82
	v_mul_f32_e32 v131, v131, v7                               // 00000000D0E8: 0B060F83
	v_mul_f32_e32 v128, v128, v184                             // 00000000D0EC: 0B017180
	v_mul_f32_e32 v129, v129, v185                             // 00000000D0F0: 0B037381
	v_mul_f32_e32 v130, v130, v186                             // 00000000D0F4: 0B057582
	v_mul_f32_e32 v131, v131, v187                             // 00000000D0F8: 0B077783

000000000000d0fc <label_29C2>:
	v_cmp_u_f32_e64 s[46:47], v76, v76                         // 00000000D0FC: D048002E 0002994C
	v_add3_u32 v16, v76, v19, 1                                // 00000000D104: D1FF0010 0206274C
	v_cndmask_b32_e64 v4, v16, v18, s[46:47]                   // 00000000D10C: D1000004 00BA2510
	v_cmp_u_f32_e64 s[46:47], v77, v77                         // 00000000D114: D048002E 00029B4D
	v_add3_u32 v16, v77, v19, 1                                // 00000000D11C: D1FF0010 0206274D
	v_cndmask_b32_e64 v5, v16, v18, s[46:47]                   // 00000000D124: D1000005 00BA2510
	v_perm_b32 v76, v5, v4, s52                                // 00000000D12C: D1ED004C 00D20905
	v_cmp_u_f32_e64 s[46:47], v78, v78                         // 00000000D134: D048002E 00029D4E
	v_add3_u32 v16, v78, v19, 1                                // 00000000D13C: D1FF0010 0206274E
	v_cndmask_b32_e64 v4, v16, v18, s[46:47]                   // 00000000D144: D1000004 00BA2510
	v_cmp_u_f32_e64 s[46:47], v79, v79                         // 00000000D14C: D048002E 00029F4F
	v_add3_u32 v16, v79, v19, 1                                // 00000000D154: D1FF0010 0206274F
	v_cndmask_b32_e64 v5, v16, v18, s[46:47]                   // 00000000D15C: D1000005 00BA2510
	v_perm_b32 v77, v5, v4, s52                                // 00000000D164: D1ED004D 00D20905
	v_cmp_u_f32_e64 s[46:47], v80, v80                         // 00000000D16C: D048002E 0002A150
	v_add3_u32 v16, v80, v19, 1                                // 00000000D174: D1FF0010 02062750
	v_cndmask_b32_e64 v4, v16, v18, s[46:47]                   // 00000000D17C: D1000004 00BA2510
	v_cmp_u_f32_e64 s[46:47], v81, v81                         // 00000000D184: D048002E 0002A351
	v_add3_u32 v16, v81, v19, 1                                // 00000000D18C: D1FF0010 02062751
	v_cndmask_b32_e64 v5, v16, v18, s[46:47]                   // 00000000D194: D1000005 00BA2510
	v_perm_b32 v78, v5, v4, s52                                // 00000000D19C: D1ED004E 00D20905
	v_cmp_u_f32_e64 s[46:47], v82, v82                         // 00000000D1A4: D048002E 0002A552
	v_add3_u32 v16, v82, v19, 1                                // 00000000D1AC: D1FF0010 02062752
	v_cndmask_b32_e64 v4, v16, v18, s[46:47]                   // 00000000D1B4: D1000004 00BA2510
	v_cmp_u_f32_e64 s[46:47], v83, v83                         // 00000000D1BC: D048002E 0002A753
	v_add3_u32 v16, v83, v19, 1                                // 00000000D1C4: D1FF0010 02062753
	v_cndmask_b32_e64 v5, v16, v18, s[46:47]                   // 00000000D1CC: D1000005 00BA2510
	v_perm_b32 v79, v5, v4, s52                                // 00000000D1D4: D1ED004F 00D20905
	v_cmp_u_f32_e64 s[46:47], v84, v84                         // 00000000D1DC: D048002E 0002A954
	v_add3_u32 v16, v84, v19, 1                                // 00000000D1E4: D1FF0010 02062754
	v_cndmask_b32_e64 v4, v16, v18, s[46:47]                   // 00000000D1EC: D1000004 00BA2510
	v_cmp_u_f32_e64 s[46:47], v85, v85                         // 00000000D1F4: D048002E 0002AB55
	v_add3_u32 v16, v85, v19, 1                                // 00000000D1FC: D1FF0010 02062755
	v_cndmask_b32_e64 v5, v16, v18, s[46:47]                   // 00000000D204: D1000005 00BA2510
	v_perm_b32 v80, v5, v4, s52                                // 00000000D20C: D1ED0050 00D20905
	v_cmp_u_f32_e64 s[46:47], v86, v86                         // 00000000D214: D048002E 0002AD56
	v_add3_u32 v16, v86, v19, 1                                // 00000000D21C: D1FF0010 02062756
	v_cndmask_b32_e64 v4, v16, v18, s[46:47]                   // 00000000D224: D1000004 00BA2510
	v_cmp_u_f32_e64 s[46:47], v87, v87                         // 00000000D22C: D048002E 0002AF57
	v_add3_u32 v16, v87, v19, 1                                // 00000000D234: D1FF0010 02062757
	v_cndmask_b32_e64 v5, v16, v18, s[46:47]                   // 00000000D23C: D1000005 00BA2510
	v_perm_b32 v81, v5, v4, s52                                // 00000000D244: D1ED0051 00D20905
	v_cmp_u_f32_e64 s[46:47], v88, v88                         // 00000000D24C: D048002E 0002B158
	v_add3_u32 v16, v88, v19, 1                                // 00000000D254: D1FF0010 02062758
	v_cndmask_b32_e64 v4, v16, v18, s[46:47]                   // 00000000D25C: D1000004 00BA2510
	v_cmp_u_f32_e64 s[46:47], v89, v89                         // 00000000D264: D048002E 0002B359
	v_add3_u32 v16, v89, v19, 1                                // 00000000D26C: D1FF0010 02062759
	v_cndmask_b32_e64 v5, v16, v18, s[46:47]                   // 00000000D274: D1000005 00BA2510
	v_perm_b32 v82, v5, v4, s52                                // 00000000D27C: D1ED0052 00D20905
	v_cmp_u_f32_e64 s[46:47], v90, v90                         // 00000000D284: D048002E 0002B55A
	v_add3_u32 v16, v90, v19, 1                                // 00000000D28C: D1FF0010 0206275A
	v_cndmask_b32_e64 v4, v16, v18, s[46:47]                   // 00000000D294: D1000004 00BA2510
	v_cmp_u_f32_e64 s[46:47], v91, v91                         // 00000000D29C: D048002E 0002B75B
	v_add3_u32 v16, v91, v19, 1                                // 00000000D2A4: D1FF0010 0206275B
	v_cndmask_b32_e64 v5, v16, v18, s[46:47]                   // 00000000D2AC: D1000005 00BA2510
	v_perm_b32 v83, v5, v4, s52                                // 00000000D2B4: D1ED0053 00D20905
	v_cmp_u_f32_e64 s[46:47], v92, v92                         // 00000000D2BC: D048002E 0002B95C
	v_add3_u32 v16, v92, v19, 1                                // 00000000D2C4: D1FF0010 0206275C
	v_cndmask_b32_e64 v4, v16, v18, s[46:47]                   // 00000000D2CC: D1000004 00BA2510
	v_cmp_u_f32_e64 s[46:47], v93, v93                         // 00000000D2D4: D048002E 0002BB5D
	v_add3_u32 v16, v93, v19, 1                                // 00000000D2DC: D1FF0010 0206275D
	v_cndmask_b32_e64 v5, v16, v18, s[46:47]                   // 00000000D2E4: D1000005 00BA2510
	v_perm_b32 v84, v5, v4, s52                                // 00000000D2EC: D1ED0054 00D20905
	v_cmp_u_f32_e64 s[46:47], v94, v94                         // 00000000D2F4: D048002E 0002BD5E
	v_add3_u32 v16, v94, v19, 1                                // 00000000D2FC: D1FF0010 0206275E
	v_cndmask_b32_e64 v4, v16, v18, s[46:47]                   // 00000000D304: D1000004 00BA2510
	v_cmp_u_f32_e64 s[46:47], v95, v95                         // 00000000D30C: D048002E 0002BF5F
	v_add3_u32 v16, v95, v19, 1                                // 00000000D314: D1FF0010 0206275F
	v_cndmask_b32_e64 v5, v16, v18, s[46:47]                   // 00000000D31C: D1000005 00BA2510
	v_perm_b32 v85, v5, v4, s52                                // 00000000D324: D1ED0055 00D20905
	v_cmp_u_f32_e64 s[46:47], v96, v96                         // 00000000D32C: D048002E 0002C160
	v_add3_u32 v16, v96, v19, 1                                // 00000000D334: D1FF0010 02062760
	v_cndmask_b32_e64 v4, v16, v18, s[46:47]                   // 00000000D33C: D1000004 00BA2510
	v_cmp_u_f32_e64 s[46:47], v97, v97                         // 00000000D344: D048002E 0002C361
	v_add3_u32 v16, v97, v19, 1                                // 00000000D34C: D1FF0010 02062761
	v_cndmask_b32_e64 v5, v16, v18, s[46:47]                   // 00000000D354: D1000005 00BA2510
	v_perm_b32 v86, v5, v4, s52                                // 00000000D35C: D1ED0056 00D20905
	v_cmp_u_f32_e64 s[46:47], v98, v98                         // 00000000D364: D048002E 0002C562
	v_add3_u32 v16, v98, v19, 1                                // 00000000D36C: D1FF0010 02062762
	v_cndmask_b32_e64 v4, v16, v18, s[46:47]                   // 00000000D374: D1000004 00BA2510
	v_cmp_u_f32_e64 s[46:47], v99, v99                         // 00000000D37C: D048002E 0002C763
	v_add3_u32 v16, v99, v19, 1                                // 00000000D384: D1FF0010 02062763
	v_cndmask_b32_e64 v5, v16, v18, s[46:47]                   // 00000000D38C: D1000005 00BA2510
	v_perm_b32 v87, v5, v4, s52                                // 00000000D394: D1ED0057 00D20905
	v_cmp_u_f32_e64 s[46:47], v100, v100                       // 00000000D39C: D048002E 0002C964
	v_add3_u32 v16, v100, v19, 1                               // 00000000D3A4: D1FF0010 02062764
	v_cndmask_b32_e64 v4, v16, v18, s[46:47]                   // 00000000D3AC: D1000004 00BA2510
	v_cmp_u_f32_e64 s[46:47], v101, v101                       // 00000000D3B4: D048002E 0002CB65
	v_add3_u32 v16, v101, v19, 1                               // 00000000D3BC: D1FF0010 02062765
	v_cndmask_b32_e64 v5, v16, v18, s[46:47]                   // 00000000D3C4: D1000005 00BA2510
	v_perm_b32 v88, v5, v4, s52                                // 00000000D3CC: D1ED0058 00D20905
	v_cmp_u_f32_e64 s[46:47], v102, v102                       // 00000000D3D4: D048002E 0002CD66
	v_add3_u32 v16, v102, v19, 1                               // 00000000D3DC: D1FF0010 02062766
	v_cndmask_b32_e64 v4, v16, v18, s[46:47]                   // 00000000D3E4: D1000004 00BA2510
	v_cmp_u_f32_e64 s[46:47], v103, v103                       // 00000000D3EC: D048002E 0002CF67
	v_add3_u32 v16, v103, v19, 1                               // 00000000D3F4: D1FF0010 02062767
	v_cndmask_b32_e64 v5, v16, v18, s[46:47]                   // 00000000D3FC: D1000005 00BA2510
	v_perm_b32 v89, v5, v4, s52                                // 00000000D404: D1ED0059 00D20905
	v_cmp_u_f32_e64 s[46:47], v104, v104                       // 00000000D40C: D048002E 0002D168
	v_add3_u32 v16, v104, v19, 1                               // 00000000D414: D1FF0010 02062768
	v_cndmask_b32_e64 v4, v16, v18, s[46:47]                   // 00000000D41C: D1000004 00BA2510
	v_cmp_u_f32_e64 s[46:47], v105, v105                       // 00000000D424: D048002E 0002D369
	v_add3_u32 v16, v105, v19, 1                               // 00000000D42C: D1FF0010 02062769
	v_cndmask_b32_e64 v5, v16, v18, s[46:47]                   // 00000000D434: D1000005 00BA2510
	v_perm_b32 v90, v5, v4, s52                                // 00000000D43C: D1ED005A 00D20905
	v_cmp_u_f32_e64 s[46:47], v106, v106                       // 00000000D444: D048002E 0002D56A
	v_add3_u32 v16, v106, v19, 1                               // 00000000D44C: D1FF0010 0206276A
	v_cndmask_b32_e64 v4, v16, v18, s[46:47]                   // 00000000D454: D1000004 00BA2510
	v_cmp_u_f32_e64 s[46:47], v107, v107                       // 00000000D45C: D048002E 0002D76B
	v_add3_u32 v16, v107, v19, 1                               // 00000000D464: D1FF0010 0206276B
	v_cndmask_b32_e64 v5, v16, v18, s[46:47]                   // 00000000D46C: D1000005 00BA2510
	v_perm_b32 v91, v5, v4, s52                                // 00000000D474: D1ED005B 00D20905
	v_cmp_u_f32_e64 s[46:47], v108, v108                       // 00000000D47C: D048002E 0002D96C
	v_add3_u32 v16, v108, v19, 1                               // 00000000D484: D1FF0010 0206276C
	v_cndmask_b32_e64 v4, v16, v18, s[46:47]                   // 00000000D48C: D1000004 00BA2510
	v_cmp_u_f32_e64 s[46:47], v109, v109                       // 00000000D494: D048002E 0002DB6D
	v_add3_u32 v16, v109, v19, 1                               // 00000000D49C: D1FF0010 0206276D
	v_cndmask_b32_e64 v5, v16, v18, s[46:47]                   // 00000000D4A4: D1000005 00BA2510
	v_perm_b32 v92, v5, v4, s52                                // 00000000D4AC: D1ED005C 00D20905
	v_cmp_u_f32_e64 s[46:47], v110, v110                       // 00000000D4B4: D048002E 0002DD6E
	v_add3_u32 v16, v110, v19, 1                               // 00000000D4BC: D1FF0010 0206276E
	v_cndmask_b32_e64 v4, v16, v18, s[46:47]                   // 00000000D4C4: D1000004 00BA2510
	v_cmp_u_f32_e64 s[46:47], v111, v111                       // 00000000D4CC: D048002E 0002DF6F
	v_add3_u32 v16, v111, v19, 1                               // 00000000D4D4: D1FF0010 0206276F
	v_cndmask_b32_e64 v5, v16, v18, s[46:47]                   // 00000000D4DC: D1000005 00BA2510
	v_perm_b32 v93, v5, v4, s52                                // 00000000D4E4: D1ED005D 00D20905
	v_cmp_u_f32_e64 s[46:47], v112, v112                       // 00000000D4EC: D048002E 0002E170
	v_add3_u32 v16, v112, v19, 1                               // 00000000D4F4: D1FF0010 02062770
	v_cndmask_b32_e64 v4, v16, v18, s[46:47]                   // 00000000D4FC: D1000004 00BA2510
	v_cmp_u_f32_e64 s[46:47], v113, v113                       // 00000000D504: D048002E 0002E371
	v_add3_u32 v16, v113, v19, 1                               // 00000000D50C: D1FF0010 02062771
	v_cndmask_b32_e64 v5, v16, v18, s[46:47]                   // 00000000D514: D1000005 00BA2510
	v_perm_b32 v94, v5, v4, s52                                // 00000000D51C: D1ED005E 00D20905
	v_cmp_u_f32_e64 s[46:47], v114, v114                       // 00000000D524: D048002E 0002E572
	v_add3_u32 v16, v114, v19, 1                               // 00000000D52C: D1FF0010 02062772
	v_cndmask_b32_e64 v4, v16, v18, s[46:47]                   // 00000000D534: D1000004 00BA2510
	v_cmp_u_f32_e64 s[46:47], v115, v115                       // 00000000D53C: D048002E 0002E773
	v_add3_u32 v16, v115, v19, 1                               // 00000000D544: D1FF0010 02062773
	v_cndmask_b32_e64 v5, v16, v18, s[46:47]                   // 00000000D54C: D1000005 00BA2510
	v_perm_b32 v95, v5, v4, s52                                // 00000000D554: D1ED005F 00D20905
	v_cmp_u_f32_e64 s[46:47], v116, v116                       // 00000000D55C: D048002E 0002E974
	v_add3_u32 v16, v116, v19, 1                               // 00000000D564: D1FF0010 02062774
	v_cndmask_b32_e64 v4, v16, v18, s[46:47]                   // 00000000D56C: D1000004 00BA2510
	v_cmp_u_f32_e64 s[46:47], v117, v117                       // 00000000D574: D048002E 0002EB75
	v_add3_u32 v16, v117, v19, 1                               // 00000000D57C: D1FF0010 02062775
	v_cndmask_b32_e64 v5, v16, v18, s[46:47]                   // 00000000D584: D1000005 00BA2510
	v_perm_b32 v96, v5, v4, s52                                // 00000000D58C: D1ED0060 00D20905
	v_cmp_u_f32_e64 s[46:47], v118, v118                       // 00000000D594: D048002E 0002ED76
	v_add3_u32 v16, v118, v19, 1                               // 00000000D59C: D1FF0010 02062776
	v_cndmask_b32_e64 v4, v16, v18, s[46:47]                   // 00000000D5A4: D1000004 00BA2510
	v_cmp_u_f32_e64 s[46:47], v119, v119                       // 00000000D5AC: D048002E 0002EF77
	v_add3_u32 v16, v119, v19, 1                               // 00000000D5B4: D1FF0010 02062777
	v_cndmask_b32_e64 v5, v16, v18, s[46:47]                   // 00000000D5BC: D1000005 00BA2510
	v_perm_b32 v97, v5, v4, s52                                // 00000000D5C4: D1ED0061 00D20905
	v_cmp_u_f32_e64 s[46:47], v120, v120                       // 00000000D5CC: D048002E 0002F178
	v_add3_u32 v16, v120, v19, 1                               // 00000000D5D4: D1FF0010 02062778
	v_cndmask_b32_e64 v4, v16, v18, s[46:47]                   // 00000000D5DC: D1000004 00BA2510
	v_cmp_u_f32_e64 s[46:47], v121, v121                       // 00000000D5E4: D048002E 0002F379
	v_add3_u32 v16, v121, v19, 1                               // 00000000D5EC: D1FF0010 02062779
	v_cndmask_b32_e64 v5, v16, v18, s[46:47]                   // 00000000D5F4: D1000005 00BA2510
	v_perm_b32 v98, v5, v4, s52                                // 00000000D5FC: D1ED0062 00D20905
	v_cmp_u_f32_e64 s[46:47], v122, v122                       // 00000000D604: D048002E 0002F57A
	v_add3_u32 v16, v122, v19, 1                               // 00000000D60C: D1FF0010 0206277A
	v_cndmask_b32_e64 v4, v16, v18, s[46:47]                   // 00000000D614: D1000004 00BA2510
	v_cmp_u_f32_e64 s[46:47], v123, v123                       // 00000000D61C: D048002E 0002F77B
	v_add3_u32 v16, v123, v19, 1                               // 00000000D624: D1FF0010 0206277B
	v_cndmask_b32_e64 v5, v16, v18, s[46:47]                   // 00000000D62C: D1000005 00BA2510
	v_perm_b32 v99, v5, v4, s52                                // 00000000D634: D1ED0063 00D20905
	v_cmp_u_f32_e64 s[46:47], v124, v124                       // 00000000D63C: D048002E 0002F97C
	v_add3_u32 v16, v124, v19, 1                               // 00000000D644: D1FF0010 0206277C
	v_cndmask_b32_e64 v4, v16, v18, s[46:47]                   // 00000000D64C: D1000004 00BA2510
	v_cmp_u_f32_e64 s[46:47], v125, v125                       // 00000000D654: D048002E 0002FB7D
	v_add3_u32 v16, v125, v19, 1                               // 00000000D65C: D1FF0010 0206277D
	v_cndmask_b32_e64 v5, v16, v18, s[46:47]                   // 00000000D664: D1000005 00BA2510
	v_perm_b32 v100, v5, v4, s52                               // 00000000D66C: D1ED0064 00D20905
	v_cmp_u_f32_e64 s[46:47], v126, v126                       // 00000000D674: D048002E 0002FD7E
	v_add3_u32 v16, v126, v19, 1                               // 00000000D67C: D1FF0010 0206277E
	v_cndmask_b32_e64 v4, v16, v18, s[46:47]                   // 00000000D684: D1000004 00BA2510
	v_cmp_u_f32_e64 s[46:47], v127, v127                       // 00000000D68C: D048002E 0002FF7F
	v_add3_u32 v16, v127, v19, 1                               // 00000000D694: D1FF0010 0206277F
	v_cndmask_b32_e64 v5, v16, v18, s[46:47]                   // 00000000D69C: D1000005 00BA2510
	v_perm_b32 v101, v5, v4, s52                               // 00000000D6A4: D1ED0065 00D20905
	v_cmp_u_f32_e64 s[46:47], v128, v128                       // 00000000D6AC: D048002E 00030180
	v_add3_u32 v16, v128, v19, 1                               // 00000000D6B4: D1FF0010 02062780
	v_cndmask_b32_e64 v4, v16, v18, s[46:47]                   // 00000000D6BC: D1000004 00BA2510
	v_cmp_u_f32_e64 s[46:47], v129, v129                       // 00000000D6C4: D048002E 00030381
	v_add3_u32 v16, v129, v19, 1                               // 00000000D6CC: D1FF0010 02062781
	v_cndmask_b32_e64 v5, v16, v18, s[46:47]                   // 00000000D6D4: D1000005 00BA2510
	v_perm_b32 v102, v5, v4, s52                               // 00000000D6DC: D1ED0066 00D20905
	v_cmp_u_f32_e64 s[46:47], v130, v130                       // 00000000D6E4: D048002E 00030582
	v_add3_u32 v16, v130, v19, 1                               // 00000000D6EC: D1FF0010 02062782
	v_cndmask_b32_e64 v4, v16, v18, s[46:47]                   // 00000000D6F4: D1000004 00BA2510
	v_cmp_u_f32_e64 s[46:47], v131, v131                       // 00000000D6FC: D048002E 00030783
	v_add3_u32 v16, v131, v19, 1                               // 00000000D704: D1FF0010 02062783
	v_cndmask_b32_e64 v5, v16, v18, s[46:47]                   // 00000000D70C: D1000005 00BA2510
	v_perm_b32 v103, v5, v4, s52                               // 00000000D714: D1ED0067 00D20905
	ds_write_b64 v20, v[76:77]                                 // 00000000D71C: D89A0000 00004C14
	ds_write_b64 v20, v[78:79] offset:4352                     // 00000000D724: D89A1100 00004E14
	ds_write_b64 v20, v[80:81] offset:8704                     // 00000000D72C: D89A2200 00005014
	ds_write_b64 v20, v[82:83] offset:13056                    // 00000000D734: D89A3300 00005214
	ds_write_b64 v20, v[84:85] offset:17408                    // 00000000D73C: D89A4400 00005414
	ds_write_b64 v20, v[86:87] offset:21760                    // 00000000D744: D89A5500 00005614
	ds_write_b64 v20, v[88:89] offset:26112                    // 00000000D74C: D89A6600 00005814
	ds_write_b64 v20, v[90:91] offset:2176                     // 00000000D754: D89A0880 00005A14
	ds_write_b64 v20, v[92:93] offset:6528                     // 00000000D75C: D89A1980 00005C14
	ds_write_b64 v20, v[94:95] offset:10880                    // 00000000D764: D89A2A80 00005E14
	ds_write_b64 v20, v[96:97] offset:15232                    // 00000000D76C: D89A3B80 00006014
	ds_write_b64 v20, v[98:99] offset:19584                    // 00000000D774: D89A4C80 00006214
	ds_write_b64 v20, v[100:101] offset:23936                  // 00000000D77C: D89A5D80 00006414
	ds_write_b64 v20, v[102:103] offset:28288                  // 00000000D784: D89A6E80 00006614
	v_lshrrev_b32_e32 v4, 5, v0                                // 00000000D78C: 20080085
	v_xor_b32_e32 v5, 1, v4                                    // 00000000D790: 2A0A0881
	s_mul_i32 s60, s65, 2                                      // 00000000D794: 923C8241
	s_cmp_eq_u32 s88, 0                                        // 00000000D798: BF068058
	s_cselect_b32 s61, 1, 4                                    // 00000000D79C: 853D8481
	s_mul_i32 s60, s61, s60                                    // 00000000D7A0: 923C3C3D
	v_readlane_b32 s82, v3, 0                                  // 00000000D7A4: D2890052 00010103
	s_lshr_b32 s61, s82, 24                                    // 00000000D7AC: 8F3D9852
	s_and_b32 s82, s82, 0xffffff                               // 00000000D7B0: 8652FF52 00FFFFFF
	s_mul_i32 s82, s82, s71                                    // 00000000D7B8: 92524752
	s_mul_i32 s61, s60, s61                                    // 00000000D7BC: 923D3D3C
	s_add_u32 s82, s82, s61                                    // 00000000D7C0: 80523D52
	v_mul_lo_u32 v6, v5, s82                                   // 00000000D7C4: D2850006 0000A505
	v_readlane_b32 s82, v3, 1                                  // 00000000D7CC: D2890052 00010303
	s_lshr_b32 s61, s82, 24                                    // 00000000D7D4: 8F3D9852
	s_and_b32 s82, s82, 0xffffff                               // 00000000D7D8: 8652FF52 00FFFFFF
	s_mul_i32 s82, s82, s71                                    // 00000000D7E0: 92524752
	s_mul_i32 s61, s60, s61                                    // 00000000D7E4: 923D3D3C
	s_add_u32 s82, s82, s61                                    // 00000000D7E8: 80523D52
	v_mul_lo_u32 v7, v4, s82                                   // 00000000D7EC: D2850007 0000A504
	v_add_u32_e32 v58, v6, v7                                  // 00000000D7F4: 68740F06
	v_readlane_b32 s82, v3, 2                                  // 00000000D7F8: D2890052 00010503
	s_lshr_b32 s61, s82, 24                                    // 00000000D800: 8F3D9852
	s_and_b32 s82, s82, 0xffffff                               // 00000000D804: 8652FF52 00FFFFFF
	s_mul_i32 s82, s82, s71                                    // 00000000D80C: 92524752
	s_mul_i32 s61, s60, s61                                    // 00000000D810: 923D3D3C
	s_add_u32 s82, s82, s61                                    // 00000000D814: 80523D52
	v_mul_lo_u32 v6, v5, s82                                   // 00000000D818: D2850006 0000A505
	v_readlane_b32 s82, v3, 3                                  // 00000000D820: D2890052 00010703
	s_lshr_b32 s61, s82, 24                                    // 00000000D828: 8F3D9852
	s_and_b32 s82, s82, 0xffffff                               // 00000000D82C: 8652FF52 00FFFFFF
	s_mul_i32 s82, s82, s71                                    // 00000000D834: 92524752
	s_mul_i32 s61, s60, s61                                    // 00000000D838: 923D3D3C
	s_add_u32 s82, s82, s61                                    // 00000000D83C: 80523D52
	v_mul_lo_u32 v7, v4, s82                                   // 00000000D840: D2850007 0000A504
	v_add_u32_e32 v59, v6, v7                                  // 00000000D848: 68760F06
	v_readlane_b32 s82, v3, 4                                  // 00000000D84C: D2890052 00010903
	s_lshr_b32 s61, s82, 24                                    // 00000000D854: 8F3D9852
	s_and_b32 s82, s82, 0xffffff                               // 00000000D858: 8652FF52 00FFFFFF
	s_mul_i32 s82, s82, s71                                    // 00000000D860: 92524752
	s_mul_i32 s61, s60, s61                                    // 00000000D864: 923D3D3C
	s_add_u32 s82, s82, s61                                    // 00000000D868: 80523D52
	v_mul_lo_u32 v6, v5, s82                                   // 00000000D86C: D2850006 0000A505
	v_readlane_b32 s82, v3, 5                                  // 00000000D874: D2890052 00010B03
	s_lshr_b32 s61, s82, 24                                    // 00000000D87C: 8F3D9852
	s_and_b32 s82, s82, 0xffffff                               // 00000000D880: 8652FF52 00FFFFFF
	s_mul_i32 s82, s82, s71                                    // 00000000D888: 92524752
	s_mul_i32 s61, s60, s61                                    // 00000000D88C: 923D3D3C
	s_add_u32 s82, s82, s61                                    // 00000000D890: 80523D52
	v_mul_lo_u32 v7, v4, s82                                   // 00000000D894: D2850007 0000A504
	v_add_u32_e32 v60, v6, v7                                  // 00000000D89C: 68780F06
	v_readlane_b32 s82, v3, 6                                  // 00000000D8A0: D2890052 00010D03
	s_lshr_b32 s61, s82, 24                                    // 00000000D8A8: 8F3D9852
	s_and_b32 s82, s82, 0xffffff                               // 00000000D8AC: 8652FF52 00FFFFFF
	s_mul_i32 s82, s82, s71                                    // 00000000D8B4: 92524752
	s_mul_i32 s61, s60, s61                                    // 00000000D8B8: 923D3D3C
	s_add_u32 s82, s82, s61                                    // 00000000D8BC: 80523D52
	v_mul_lo_u32 v6, v5, s82                                   // 00000000D8C0: D2850006 0000A505
	v_readlane_b32 s82, v3, 7                                  // 00000000D8C8: D2890052 00010F03
	s_lshr_b32 s61, s82, 24                                    // 00000000D8D0: 8F3D9852
	s_and_b32 s82, s82, 0xffffff                               // 00000000D8D4: 8652FF52 00FFFFFF
	s_mul_i32 s82, s82, s71                                    // 00000000D8DC: 92524752
	s_mul_i32 s61, s60, s61                                    // 00000000D8E0: 923D3D3C
	s_add_u32 s82, s82, s61                                    // 00000000D8E4: 80523D52
	v_mul_lo_u32 v7, v4, s82                                   // 00000000D8E8: D2850007 0000A504
	v_add_u32_e32 v61, v6, v7                                  // 00000000D8F0: 687A0F06
	v_readlane_b32 s82, v3, 8                                  // 00000000D8F4: D2890052 00011103
	s_lshr_b32 s61, s82, 24                                    // 00000000D8FC: 8F3D9852
	s_and_b32 s82, s82, 0xffffff                               // 00000000D900: 8652FF52 00FFFFFF
	s_mul_i32 s82, s82, s71                                    // 00000000D908: 92524752
	s_mul_i32 s61, s60, s61                                    // 00000000D90C: 923D3D3C
	s_add_u32 s82, s82, s61                                    // 00000000D910: 80523D52
	v_mul_lo_u32 v6, v5, s82                                   // 00000000D914: D2850006 0000A505
	v_readlane_b32 s82, v3, 9                                  // 00000000D91C: D2890052 00011303
	s_lshr_b32 s61, s82, 24                                    // 00000000D924: 8F3D9852
	s_and_b32 s82, s82, 0xffffff                               // 00000000D928: 8652FF52 00FFFFFF
	s_mul_i32 s82, s82, s71                                    // 00000000D930: 92524752
	s_mul_i32 s61, s60, s61                                    // 00000000D934: 923D3D3C
	s_add_u32 s82, s82, s61                                    // 00000000D938: 80523D52
	v_mul_lo_u32 v7, v4, s82                                   // 00000000D93C: D2850007 0000A504
	v_add_u32_e32 v62, v6, v7                                  // 00000000D944: 687C0F06
	v_readlane_b32 s82, v3, 10                                 // 00000000D948: D2890052 00011503
	s_lshr_b32 s61, s82, 24                                    // 00000000D950: 8F3D9852
	s_and_b32 s82, s82, 0xffffff                               // 00000000D954: 8652FF52 00FFFFFF
	s_mul_i32 s82, s82, s71                                    // 00000000D95C: 92524752
	s_mul_i32 s61, s60, s61                                    // 00000000D960: 923D3D3C
	s_add_u32 s82, s82, s61                                    // 00000000D964: 80523D52
	v_mul_lo_u32 v6, v5, s82                                   // 00000000D968: D2850006 0000A505
	v_readlane_b32 s82, v3, 11                                 // 00000000D970: D2890052 00011703
	s_lshr_b32 s61, s82, 24                                    // 00000000D978: 8F3D9852
	s_and_b32 s82, s82, 0xffffff                               // 00000000D97C: 8652FF52 00FFFFFF
	s_mul_i32 s82, s82, s71                                    // 00000000D984: 92524752
	s_mul_i32 s61, s60, s61                                    // 00000000D988: 923D3D3C
	s_add_u32 s82, s82, s61                                    // 00000000D98C: 80523D52
	v_mul_lo_u32 v7, v4, s82                                   // 00000000D990: D2850007 0000A504
	v_add_u32_e32 v63, v6, v7                                  // 00000000D998: 687E0F06
	v_readlane_b32 s82, v3, 12                                 // 00000000D99C: D2890052 00011903
	s_lshr_b32 s61, s82, 24                                    // 00000000D9A4: 8F3D9852
	s_and_b32 s82, s82, 0xffffff                               // 00000000D9A8: 8652FF52 00FFFFFF
	s_mul_i32 s82, s82, s71                                    // 00000000D9B0: 92524752
	s_mul_i32 s61, s60, s61                                    // 00000000D9B4: 923D3D3C
	s_add_u32 s82, s82, s61                                    // 00000000D9B8: 80523D52
	v_mul_lo_u32 v6, v5, s82                                   // 00000000D9BC: D2850006 0000A505
	v_readlane_b32 s82, v3, 13                                 // 00000000D9C4: D2890052 00011B03
	s_lshr_b32 s61, s82, 24                                    // 00000000D9CC: 8F3D9852
	s_and_b32 s82, s82, 0xffffff                               // 00000000D9D0: 8652FF52 00FFFFFF
	s_mul_i32 s82, s82, s71                                    // 00000000D9D8: 92524752
	s_mul_i32 s61, s60, s61                                    // 00000000D9DC: 923D3D3C
	s_add_u32 s82, s82, s61                                    // 00000000D9E0: 80523D52
	v_mul_lo_u32 v7, v4, s82                                   // 00000000D9E4: D2850007 0000A504
	v_add_u32_e32 v64, v6, v7                                  // 00000000D9EC: 68800F06
	v_readlane_b32 s82, v3, 14                                 // 00000000D9F0: D2890052 00011D03
	s_lshr_b32 s61, s82, 24                                    // 00000000D9F8: 8F3D9852
	s_and_b32 s82, s82, 0xffffff                               // 00000000D9FC: 8652FF52 00FFFFFF
	s_mul_i32 s82, s82, s71                                    // 00000000DA04: 92524752
	s_mul_i32 s61, s60, s61                                    // 00000000DA08: 923D3D3C
	s_add_u32 s82, s82, s61                                    // 00000000DA0C: 80523D52
	v_mul_lo_u32 v6, v5, s82                                   // 00000000DA10: D2850006 0000A505
	v_readlane_b32 s82, v3, 15                                 // 00000000DA18: D2890052 00011F03
	s_lshr_b32 s61, s82, 24                                    // 00000000DA20: 8F3D9852
	s_and_b32 s82, s82, 0xffffff                               // 00000000DA24: 8652FF52 00FFFFFF
	s_mul_i32 s82, s82, s71                                    // 00000000DA2C: 92524752
	s_mul_i32 s61, s60, s61                                    // 00000000DA30: 923D3D3C
	s_add_u32 s82, s82, s61                                    // 00000000DA34: 80523D52
	v_mul_lo_u32 v7, v4, s82                                   // 00000000DA38: D2850007 0000A504
	v_add_u32_e32 v65, v6, v7                                  // 00000000DA40: 68820F06
	v_readlane_b32 s82, v3, 16                                 // 00000000DA44: D2890052 00012103
	s_lshr_b32 s61, s82, 24                                    // 00000000DA4C: 8F3D9852
	s_and_b32 s82, s82, 0xffffff                               // 00000000DA50: 8652FF52 00FFFFFF
	s_mul_i32 s82, s82, s71                                    // 00000000DA58: 92524752
	s_mul_i32 s61, s60, s61                                    // 00000000DA5C: 923D3D3C
	s_add_u32 s82, s82, s61                                    // 00000000DA60: 80523D52
	v_mul_lo_u32 v6, v5, s82                                   // 00000000DA64: D2850006 0000A505
	v_readlane_b32 s82, v3, 17                                 // 00000000DA6C: D2890052 00012303
	s_lshr_b32 s61, s82, 24                                    // 00000000DA74: 8F3D9852
	s_and_b32 s82, s82, 0xffffff                               // 00000000DA78: 8652FF52 00FFFFFF
	s_mul_i32 s82, s82, s71                                    // 00000000DA80: 92524752
	s_mul_i32 s61, s60, s61                                    // 00000000DA84: 923D3D3C
	s_add_u32 s82, s82, s61                                    // 00000000DA88: 80523D52
	v_mul_lo_u32 v7, v4, s82                                   // 00000000DA8C: D2850007 0000A504
	v_add_u32_e32 v66, v6, v7                                  // 00000000DA94: 68840F06
	v_readlane_b32 s82, v3, 18                                 // 00000000DA98: D2890052 00012503
	s_lshr_b32 s61, s82, 24                                    // 00000000DAA0: 8F3D9852
	s_and_b32 s82, s82, 0xffffff                               // 00000000DAA4: 8652FF52 00FFFFFF
	s_mul_i32 s82, s82, s71                                    // 00000000DAAC: 92524752
	s_mul_i32 s61, s60, s61                                    // 00000000DAB0: 923D3D3C
	s_add_u32 s82, s82, s61                                    // 00000000DAB4: 80523D52
	v_mul_lo_u32 v6, v5, s82                                   // 00000000DAB8: D2850006 0000A505
	v_readlane_b32 s82, v3, 19                                 // 00000000DAC0: D2890052 00012703
	s_lshr_b32 s61, s82, 24                                    // 00000000DAC8: 8F3D9852
	s_and_b32 s82, s82, 0xffffff                               // 00000000DACC: 8652FF52 00FFFFFF
	s_mul_i32 s82, s82, s71                                    // 00000000DAD4: 92524752
	s_mul_i32 s61, s60, s61                                    // 00000000DAD8: 923D3D3C
	s_add_u32 s82, s82, s61                                    // 00000000DADC: 80523D52
	v_mul_lo_u32 v7, v4, s82                                   // 00000000DAE0: D2850007 0000A504
	v_add_u32_e32 v67, v6, v7                                  // 00000000DAE8: 68860F06
	v_readlane_b32 s82, v3, 20                                 // 00000000DAEC: D2890052 00012903
	s_lshr_b32 s61, s82, 24                                    // 00000000DAF4: 8F3D9852
	s_and_b32 s82, s82, 0xffffff                               // 00000000DAF8: 8652FF52 00FFFFFF
	s_mul_i32 s82, s82, s71                                    // 00000000DB00: 92524752
	s_mul_i32 s61, s60, s61                                    // 00000000DB04: 923D3D3C
	s_add_u32 s82, s82, s61                                    // 00000000DB08: 80523D52
	v_mul_lo_u32 v6, v5, s82                                   // 00000000DB0C: D2850006 0000A505
	v_readlane_b32 s82, v3, 21                                 // 00000000DB14: D2890052 00012B03
	s_lshr_b32 s61, s82, 24                                    // 00000000DB1C: 8F3D9852
	s_and_b32 s82, s82, 0xffffff                               // 00000000DB20: 8652FF52 00FFFFFF
	s_mul_i32 s82, s82, s71                                    // 00000000DB28: 92524752
	s_mul_i32 s61, s60, s61                                    // 00000000DB2C: 923D3D3C
	s_add_u32 s82, s82, s61                                    // 00000000DB30: 80523D52
	v_mul_lo_u32 v7, v4, s82                                   // 00000000DB34: D2850007 0000A504
	v_add_u32_e32 v68, v6, v7                                  // 00000000DB3C: 68880F06
	v_readlane_b32 s82, v3, 22                                 // 00000000DB40: D2890052 00012D03
	s_lshr_b32 s61, s82, 24                                    // 00000000DB48: 8F3D9852
	s_and_b32 s82, s82, 0xffffff                               // 00000000DB4C: 8652FF52 00FFFFFF
	s_mul_i32 s82, s82, s71                                    // 00000000DB54: 92524752
	s_mul_i32 s61, s60, s61                                    // 00000000DB58: 923D3D3C
	s_add_u32 s82, s82, s61                                    // 00000000DB5C: 80523D52
	v_mul_lo_u32 v6, v5, s82                                   // 00000000DB60: D2850006 0000A505
	v_readlane_b32 s82, v3, 23                                 // 00000000DB68: D2890052 00012F03
	s_lshr_b32 s61, s82, 24                                    // 00000000DB70: 8F3D9852
	s_and_b32 s82, s82, 0xffffff                               // 00000000DB74: 8652FF52 00FFFFFF
	s_mul_i32 s82, s82, s71                                    // 00000000DB7C: 92524752
	s_mul_i32 s61, s60, s61                                    // 00000000DB80: 923D3D3C
	s_add_u32 s82, s82, s61                                    // 00000000DB84: 80523D52
	v_mul_lo_u32 v7, v4, s82                                   // 00000000DB88: D2850007 0000A504
	v_add_u32_e32 v69, v6, v7                                  // 00000000DB90: 688A0F06
	v_readlane_b32 s82, v3, 24                                 // 00000000DB94: D2890052 00013103
	s_lshr_b32 s61, s82, 24                                    // 00000000DB9C: 8F3D9852
	s_and_b32 s82, s82, 0xffffff                               // 00000000DBA0: 8652FF52 00FFFFFF
	s_mul_i32 s82, s82, s71                                    // 00000000DBA8: 92524752
	s_mul_i32 s61, s60, s61                                    // 00000000DBAC: 923D3D3C
	s_add_u32 s82, s82, s61                                    // 00000000DBB0: 80523D52
	v_mul_lo_u32 v6, v5, s82                                   // 00000000DBB4: D2850006 0000A505
	v_readlane_b32 s82, v3, 25                                 // 00000000DBBC: D2890052 00013303
	s_lshr_b32 s61, s82, 24                                    // 00000000DBC4: 8F3D9852
	s_and_b32 s82, s82, 0xffffff                               // 00000000DBC8: 8652FF52 00FFFFFF
	s_mul_i32 s82, s82, s71                                    // 00000000DBD0: 92524752
	s_mul_i32 s61, s60, s61                                    // 00000000DBD4: 923D3D3C
	s_add_u32 s82, s82, s61                                    // 00000000DBD8: 80523D52
	v_mul_lo_u32 v7, v4, s82                                   // 00000000DBDC: D2850007 0000A504
	v_add_u32_e32 v70, v6, v7                                  // 00000000DBE4: 688C0F06
	v_readlane_b32 s82, v3, 26                                 // 00000000DBE8: D2890052 00013503
	s_lshr_b32 s61, s82, 24                                    // 00000000DBF0: 8F3D9852
	s_and_b32 s82, s82, 0xffffff                               // 00000000DBF4: 8652FF52 00FFFFFF
	s_mul_i32 s82, s82, s71                                    // 00000000DBFC: 92524752
	s_mul_i32 s61, s60, s61                                    // 00000000DC00: 923D3D3C
	s_add_u32 s82, s82, s61                                    // 00000000DC04: 80523D52
	v_mul_lo_u32 v6, v5, s82                                   // 00000000DC08: D2850006 0000A505
	v_readlane_b32 s82, v3, 27                                 // 00000000DC10: D2890052 00013703
	s_lshr_b32 s61, s82, 24                                    // 00000000DC18: 8F3D9852
	s_and_b32 s82, s82, 0xffffff                               // 00000000DC1C: 8652FF52 00FFFFFF
	s_mul_i32 s82, s82, s71                                    // 00000000DC24: 92524752
	s_mul_i32 s61, s60, s61                                    // 00000000DC28: 923D3D3C
	s_add_u32 s82, s82, s61                                    // 00000000DC2C: 80523D52
	v_mul_lo_u32 v7, v4, s82                                   // 00000000DC30: D2850007 0000A504
	v_add_u32_e32 v71, v6, v7                                  // 00000000DC38: 688E0F06
	v_and_b32_e32 v4, 31, v0                                   // 00000000DC3C: 2608009F
	v_lshrrev_b32_e32 v4, 1, v4                                // 00000000DC40: 20080881
	s_cmp_eq_u32 s88, 0                                        // 00000000DC44: BF068058
	s_cselect_b32 s61, 2, 4                                    // 00000000DC48: 853D8482
	v_mul_lo_u32 v4, v4, s61                                   // 00000000DC4C: D2850004 00007B04
	v_and_b32_e64 v5, v0, 1                                    // 00000000DC54: D1130005 00010300
	v_add_u32_e32 v4, v4, v5                                   // 00000000DC5C: 68080B04
	v_lshlrev_b32_e32 v4, 2, v4                                // 00000000DC60: 24080882
	v_add_u32_e32 v58, v58, v4                                 // 00000000DC64: 6874093A
	v_add_u32_e32 v59, v59, v4                                 // 00000000DC68: 6876093B
	v_add_u32_e32 v60, v60, v4                                 // 00000000DC6C: 6878093C
	v_add_u32_e32 v61, v61, v4                                 // 00000000DC70: 687A093D
	v_add_u32_e32 v62, v62, v4                                 // 00000000DC74: 687C093E
	v_add_u32_e32 v63, v63, v4                                 // 00000000DC78: 687E093F
	v_add_u32_e32 v64, v64, v4                                 // 00000000DC7C: 68800940
	v_add_u32_e32 v65, v65, v4                                 // 00000000DC80: 68820941
	v_add_u32_e32 v66, v66, v4                                 // 00000000DC84: 68840942
	v_add_u32_e32 v67, v67, v4                                 // 00000000DC88: 68860943
	v_add_u32_e32 v68, v68, v4                                 // 00000000DC8C: 68880944
	v_add_u32_e32 v69, v69, v4                                 // 00000000DC90: 688A0945
	v_add_u32_e32 v70, v70, v4                                 // 00000000DC94: 688C0946
	v_add_u32_e32 v71, v71, v4                                 // 00000000DC98: 688E0947
	s_waitcnt lgkmcnt(0)                                       // 00000000DC9C: BF8CC07F
	s_barrier                                                  // 00000000DCA0: BF8A0000
	ds_read_b32 v76, v21                                       // 00000000DCA4: D86C0000 4C000015
	ds_read_b32 v77, v21 offset:64                             // 00000000DCAC: D86C0040 4D000015
	ds_read_b32 v78, v21 offset:2176                           // 00000000DCB4: D86C0880 4E000015
	ds_read_b32 v79, v21 offset:2240                           // 00000000DCBC: D86C08C0 4F000015
	ds_read_b32 v80, v21 offset:4352                           // 00000000DCC4: D86C1100 50000015
	ds_read_b32 v81, v21 offset:4416                           // 00000000DCCC: D86C1140 51000015
	ds_read_b32 v82, v21 offset:6528                           // 00000000DCD4: D86C1980 52000015
	ds_read_b32 v83, v21 offset:6592                           // 00000000DCDC: D86C19C0 53000015
	ds_read_b32 v84, v21 offset:8704                           // 00000000DCE4: D86C2200 54000015
	ds_read_b32 v85, v21 offset:8768                           // 00000000DCEC: D86C2240 55000015
	ds_read_b32 v86, v21 offset:10880                          // 00000000DCF4: D86C2A80 56000015
	ds_read_b32 v87, v21 offset:10944                          // 00000000DCFC: D86C2AC0 57000015
	ds_read_b32 v88, v21 offset:13056                          // 00000000DD04: D86C3300 58000015
	ds_read_b32 v89, v21 offset:13120                          // 00000000DD0C: D86C3340 59000015
	ds_read_b32 v90, v21 offset:15232                          // 00000000DD14: D86C3B80 5A000015
	ds_read_b32 v91, v21 offset:15296                          // 00000000DD1C: D86C3BC0 5B000015
	ds_read_b32 v92, v21 offset:17408                          // 00000000DD24: D86C4400 5C000015
	ds_read_b32 v93, v21 offset:17472                          // 00000000DD2C: D86C4440 5D000015
	ds_read_b32 v94, v21 offset:19584                          // 00000000DD34: D86C4C80 5E000015
	ds_read_b32 v95, v21 offset:19648                          // 00000000DD3C: D86C4CC0 5F000015
	ds_read_b32 v96, v21 offset:21760                          // 00000000DD44: D86C5500 60000015
	ds_read_b32 v97, v21 offset:21824                          // 00000000DD4C: D86C5540 61000015
	ds_read_b32 v98, v21 offset:23936                          // 00000000DD54: D86C5D80 62000015
	ds_read_b32 v99, v21 offset:24000                          // 00000000DD5C: D86C5DC0 63000015
	ds_read_b32 v100, v21 offset:26112                         // 00000000DD64: D86C6600 64000015
	ds_read_b32 v101, v21 offset:26176                         // 00000000DD6C: D86C6640 65000015
	ds_read_b32 v102, v21 offset:28288                         // 00000000DD74: D86C6E80 66000015
	ds_read_b32 v103, v21 offset:28352                         // 00000000DD7C: D86C6EC0 67000015
	s_waitcnt lgkmcnt(0)                                       // 00000000DD84: BF8CC07F
	s_mov_b32 s36, -1                                          // 00000000DD88: BEA400C1
	s_mov_b32 s37, -1                                          // 00000000DD8C: BEA500C1
	v_mov_b32_e32 v7, 0                                        // 00000000DD90: 7E0E0280
	s_or_b32 s9, s9, 0x40000                                   // 00000000DD94: 8709FF09 00040000
	s_mov_b64 exec, s[36:37]                                   // 00000000DD9C: BEFE0124
	v_mov_b32_e32 v6, v58                                      // 00000000DDA0: 7E0C033A
	s_mov_b64 s[60:61], 0                                      // 00000000DDA4: BEBC0180
	v_readlane_b32 s82, v3, 0                                  // 00000000DDA8: D2890052 00010103
	s_and_b32 s82, s82, 0xffffff                               // 00000000DDB0: 8652FF52 00FFFFFF
	s_cmp_lt_u32 s82, s66                                      // 00000000DDB8: BF0A4252
	s_cselect_b32 s20, s36, s60                                // 00000000DDBC: 85143C24
	v_readlane_b32 s82, v3, 1                                  // 00000000DDC0: D2890052 00010303
	s_and_b32 s82, s82, 0xffffff                               // 00000000DDC8: 8652FF52 00FFFFFF
	s_cmp_lt_u32 s82, s66                                      // 00000000DDD0: BF0A4252
	s_cselect_b32 s21, s36, s60                                // 00000000DDD4: 85153C24
	s_mov_b64 exec, s[20:21]                                   // 00000000DDD8: BEFE0114
	buffer_store_dword v76, v6, s[8:11], 0 offen               // 00000000DDDC: E0701000 80024C06
	buffer_store_dword v78, v6, s[8:11], 0 offen offset:128    // 00000000DDE4: E0701080 80024E06
	s_mov_b64 exec, s[36:37]                                   // 00000000DDEC: BEFE0124
	v_mov_b32_e32 v6, v59                                      // 00000000DDF0: 7E0C033B
	s_mov_b64 s[60:61], 0                                      // 00000000DDF4: BEBC0180
	v_readlane_b32 s82, v3, 2                                  // 00000000DDF8: D2890052 00010503
	s_and_b32 s82, s82, 0xffffff                               // 00000000DE00: 8652FF52 00FFFFFF
	s_cmp_lt_u32 s82, s66                                      // 00000000DE08: BF0A4252
	s_cselect_b32 s20, s36, s60                                // 00000000DE0C: 85143C24
	v_readlane_b32 s82, v3, 3                                  // 00000000DE10: D2890052 00010703
	s_and_b32 s82, s82, 0xffffff                               // 00000000DE18: 8652FF52 00FFFFFF
	s_cmp_lt_u32 s82, s66                                      // 00000000DE20: BF0A4252
	s_cselect_b32 s21, s36, s60                                // 00000000DE24: 85153C24
	s_mov_b64 exec, s[20:21]                                   // 00000000DE28: BEFE0114
	buffer_store_dword v77, v6, s[8:11], 0 offen               // 00000000DE2C: E0701000 80024D06
	buffer_store_dword v79, v6, s[8:11], 0 offen offset:128    // 00000000DE34: E0701080 80024F06
	s_mov_b64 exec, s[36:37]                                   // 00000000DE3C: BEFE0124
	v_mov_b32_e32 v6, v60                                      // 00000000DE40: 7E0C033C
	s_mov_b64 s[60:61], 0                                      // 00000000DE44: BEBC0180
	v_readlane_b32 s82, v3, 4                                  // 00000000DE48: D2890052 00010903
	s_and_b32 s82, s82, 0xffffff                               // 00000000DE50: 8652FF52 00FFFFFF
	s_cmp_lt_u32 s82, s66                                      // 00000000DE58: BF0A4252
	s_cselect_b32 s20, s36, s60                                // 00000000DE5C: 85143C24
	v_readlane_b32 s82, v3, 5                                  // 00000000DE60: D2890052 00010B03
	s_and_b32 s82, s82, 0xffffff                               // 00000000DE68: 8652FF52 00FFFFFF
	s_cmp_lt_u32 s82, s66                                      // 00000000DE70: BF0A4252
	s_cselect_b32 s21, s36, s60                                // 00000000DE74: 85153C24
	s_mov_b64 exec, s[20:21]                                   // 00000000DE78: BEFE0114
	buffer_store_dword v80, v6, s[8:11], 0 offen               // 00000000DE7C: E0701000 80025006
	buffer_store_dword v82, v6, s[8:11], 0 offen offset:128    // 00000000DE84: E0701080 80025206
	s_mov_b64 exec, s[36:37]                                   // 00000000DE8C: BEFE0124
	v_mov_b32_e32 v6, v61                                      // 00000000DE90: 7E0C033D
	s_mov_b64 s[60:61], 0                                      // 00000000DE94: BEBC0180
	v_readlane_b32 s82, v3, 6                                  // 00000000DE98: D2890052 00010D03
	s_and_b32 s82, s82, 0xffffff                               // 00000000DEA0: 8652FF52 00FFFFFF
	s_cmp_lt_u32 s82, s66                                      // 00000000DEA8: BF0A4252
	s_cselect_b32 s20, s36, s60                                // 00000000DEAC: 85143C24
	v_readlane_b32 s82, v3, 7                                  // 00000000DEB0: D2890052 00010F03
	s_and_b32 s82, s82, 0xffffff                               // 00000000DEB8: 8652FF52 00FFFFFF
	s_cmp_lt_u32 s82, s66                                      // 00000000DEC0: BF0A4252
	s_cselect_b32 s21, s36, s60                                // 00000000DEC4: 85153C24
	s_mov_b64 exec, s[20:21]                                   // 00000000DEC8: BEFE0114
	buffer_store_dword v81, v6, s[8:11], 0 offen               // 00000000DECC: E0701000 80025106
	buffer_store_dword v83, v6, s[8:11], 0 offen offset:128    // 00000000DED4: E0701080 80025306
	s_mov_b64 exec, s[36:37]                                   // 00000000DEDC: BEFE0124
	v_mov_b32_e32 v6, v62                                      // 00000000DEE0: 7E0C033E
	s_mov_b64 s[60:61], 0                                      // 00000000DEE4: BEBC0180
	v_readlane_b32 s82, v3, 8                                  // 00000000DEE8: D2890052 00011103
	s_and_b32 s82, s82, 0xffffff                               // 00000000DEF0: 8652FF52 00FFFFFF
	s_cmp_lt_u32 s82, s66                                      // 00000000DEF8: BF0A4252
	s_cselect_b32 s20, s36, s60                                // 00000000DEFC: 85143C24
	v_readlane_b32 s82, v3, 9                                  // 00000000DF00: D2890052 00011303
	s_and_b32 s82, s82, 0xffffff                               // 00000000DF08: 8652FF52 00FFFFFF
	s_cmp_lt_u32 s82, s66                                      // 00000000DF10: BF0A4252
	s_cselect_b32 s21, s36, s60                                // 00000000DF14: 85153C24
	s_mov_b64 exec, s[20:21]                                   // 00000000DF18: BEFE0114
	buffer_store_dword v84, v6, s[8:11], 0 offen               // 00000000DF1C: E0701000 80025406
	buffer_store_dword v86, v6, s[8:11], 0 offen offset:128    // 00000000DF24: E0701080 80025606
	s_mov_b64 exec, s[36:37]                                   // 00000000DF2C: BEFE0124
	v_mov_b32_e32 v6, v63                                      // 00000000DF30: 7E0C033F
	s_mov_b64 s[60:61], 0                                      // 00000000DF34: BEBC0180
	v_readlane_b32 s82, v3, 10                                 // 00000000DF38: D2890052 00011503
	s_and_b32 s82, s82, 0xffffff                               // 00000000DF40: 8652FF52 00FFFFFF
	s_cmp_lt_u32 s82, s66                                      // 00000000DF48: BF0A4252
	s_cselect_b32 s20, s36, s60                                // 00000000DF4C: 85143C24
	v_readlane_b32 s82, v3, 11                                 // 00000000DF50: D2890052 00011703
	s_and_b32 s82, s82, 0xffffff                               // 00000000DF58: 8652FF52 00FFFFFF
	s_cmp_lt_u32 s82, s66                                      // 00000000DF60: BF0A4252
	s_cselect_b32 s21, s36, s60                                // 00000000DF64: 85153C24
	s_mov_b64 exec, s[20:21]                                   // 00000000DF68: BEFE0114
	buffer_store_dword v85, v6, s[8:11], 0 offen               // 00000000DF6C: E0701000 80025506
	buffer_store_dword v87, v6, s[8:11], 0 offen offset:128    // 00000000DF74: E0701080 80025706
	s_mov_b64 exec, s[36:37]                                   // 00000000DF7C: BEFE0124
	v_mov_b32_e32 v6, v64                                      // 00000000DF80: 7E0C0340
	s_mov_b64 s[60:61], 0                                      // 00000000DF84: BEBC0180
	v_readlane_b32 s82, v3, 12                                 // 00000000DF88: D2890052 00011903
	s_and_b32 s82, s82, 0xffffff                               // 00000000DF90: 8652FF52 00FFFFFF
	s_cmp_lt_u32 s82, s66                                      // 00000000DF98: BF0A4252
	s_cselect_b32 s20, s36, s60                                // 00000000DF9C: 85143C24
	v_readlane_b32 s82, v3, 13                                 // 00000000DFA0: D2890052 00011B03
	s_and_b32 s82, s82, 0xffffff                               // 00000000DFA8: 8652FF52 00FFFFFF
	s_cmp_lt_u32 s82, s66                                      // 00000000DFB0: BF0A4252
	s_cselect_b32 s21, s36, s60                                // 00000000DFB4: 85153C24
	s_mov_b64 exec, s[20:21]                                   // 00000000DFB8: BEFE0114
	buffer_store_dword v88, v6, s[8:11], 0 offen               // 00000000DFBC: E0701000 80025806
	buffer_store_dword v90, v6, s[8:11], 0 offen offset:128    // 00000000DFC4: E0701080 80025A06
	s_mov_b64 exec, s[36:37]                                   // 00000000DFCC: BEFE0124
	v_mov_b32_e32 v6, v65                                      // 00000000DFD0: 7E0C0341
	s_mov_b64 s[60:61], 0                                      // 00000000DFD4: BEBC0180
	v_readlane_b32 s82, v3, 14                                 // 00000000DFD8: D2890052 00011D03
	s_and_b32 s82, s82, 0xffffff                               // 00000000DFE0: 8652FF52 00FFFFFF
	s_cmp_lt_u32 s82, s66                                      // 00000000DFE8: BF0A4252
	s_cselect_b32 s20, s36, s60                                // 00000000DFEC: 85143C24
	v_readlane_b32 s82, v3, 15                                 // 00000000DFF0: D2890052 00011F03
	s_and_b32 s82, s82, 0xffffff                               // 00000000DFF8: 8652FF52 00FFFFFF
	s_cmp_lt_u32 s82, s66                                      // 00000000E000: BF0A4252
	s_cselect_b32 s21, s36, s60                                // 00000000E004: 85153C24
	s_mov_b64 exec, s[20:21]                                   // 00000000E008: BEFE0114
	buffer_store_dword v89, v6, s[8:11], 0 offen               // 00000000E00C: E0701000 80025906
	buffer_store_dword v91, v6, s[8:11], 0 offen offset:128    // 00000000E014: E0701080 80025B06
	s_mov_b64 exec, s[36:37]                                   // 00000000E01C: BEFE0124
	v_mov_b32_e32 v6, v66                                      // 00000000E020: 7E0C0342
	s_mov_b64 s[60:61], 0                                      // 00000000E024: BEBC0180
	v_readlane_b32 s82, v3, 16                                 // 00000000E028: D2890052 00012103
	s_and_b32 s82, s82, 0xffffff                               // 00000000E030: 8652FF52 00FFFFFF
	s_cmp_lt_u32 s82, s66                                      // 00000000E038: BF0A4252
	s_cselect_b32 s20, s36, s60                                // 00000000E03C: 85143C24
	v_readlane_b32 s82, v3, 17                                 // 00000000E040: D2890052 00012303
	s_and_b32 s82, s82, 0xffffff                               // 00000000E048: 8652FF52 00FFFFFF
	s_cmp_lt_u32 s82, s66                                      // 00000000E050: BF0A4252
	s_cselect_b32 s21, s36, s60                                // 00000000E054: 85153C24
	s_mov_b64 exec, s[20:21]                                   // 00000000E058: BEFE0114
	buffer_store_dword v92, v6, s[8:11], 0 offen               // 00000000E05C: E0701000 80025C06
	buffer_store_dword v94, v6, s[8:11], 0 offen offset:128    // 00000000E064: E0701080 80025E06
	s_mov_b64 exec, s[36:37]                                   // 00000000E06C: BEFE0124
	v_mov_b32_e32 v6, v67                                      // 00000000E070: 7E0C0343
	s_mov_b64 s[60:61], 0                                      // 00000000E074: BEBC0180
	v_readlane_b32 s82, v3, 18                                 // 00000000E078: D2890052 00012503
	s_and_b32 s82, s82, 0xffffff                               // 00000000E080: 8652FF52 00FFFFFF
	s_cmp_lt_u32 s82, s66                                      // 00000000E088: BF0A4252
	s_cselect_b32 s20, s36, s60                                // 00000000E08C: 85143C24
	v_readlane_b32 s82, v3, 19                                 // 00000000E090: D2890052 00012703
	s_and_b32 s82, s82, 0xffffff                               // 00000000E098: 8652FF52 00FFFFFF
	s_cmp_lt_u32 s82, s66                                      // 00000000E0A0: BF0A4252
	s_cselect_b32 s21, s36, s60                                // 00000000E0A4: 85153C24
	s_mov_b64 exec, s[20:21]                                   // 00000000E0A8: BEFE0114
	buffer_store_dword v93, v6, s[8:11], 0 offen               // 00000000E0AC: E0701000 80025D06
	buffer_store_dword v95, v6, s[8:11], 0 offen offset:128    // 00000000E0B4: E0701080 80025F06
	s_mov_b64 exec, s[36:37]                                   // 00000000E0BC: BEFE0124
	v_mov_b32_e32 v6, v68                                      // 00000000E0C0: 7E0C0344
	s_mov_b64 s[60:61], 0                                      // 00000000E0C4: BEBC0180
	v_readlane_b32 s82, v3, 20                                 // 00000000E0C8: D2890052 00012903
	s_and_b32 s82, s82, 0xffffff                               // 00000000E0D0: 8652FF52 00FFFFFF
	s_cmp_lt_u32 s82, s66                                      // 00000000E0D8: BF0A4252
	s_cselect_b32 s20, s36, s60                                // 00000000E0DC: 85143C24
	v_readlane_b32 s82, v3, 21                                 // 00000000E0E0: D2890052 00012B03
	s_and_b32 s82, s82, 0xffffff                               // 00000000E0E8: 8652FF52 00FFFFFF
	s_cmp_lt_u32 s82, s66                                      // 00000000E0F0: BF0A4252
	s_cselect_b32 s21, s36, s60                                // 00000000E0F4: 85153C24
	s_mov_b64 exec, s[20:21]                                   // 00000000E0F8: BEFE0114
	buffer_store_dword v96, v6, s[8:11], 0 offen               // 00000000E0FC: E0701000 80026006
	buffer_store_dword v98, v6, s[8:11], 0 offen offset:128    // 00000000E104: E0701080 80026206
	s_mov_b64 exec, s[36:37]                                   // 00000000E10C: BEFE0124
	v_mov_b32_e32 v6, v69                                      // 00000000E110: 7E0C0345
	s_mov_b64 s[60:61], 0                                      // 00000000E114: BEBC0180
	v_readlane_b32 s82, v3, 22                                 // 00000000E118: D2890052 00012D03
	s_and_b32 s82, s82, 0xffffff                               // 00000000E120: 8652FF52 00FFFFFF
	s_cmp_lt_u32 s82, s66                                      // 00000000E128: BF0A4252
	s_cselect_b32 s20, s36, s60                                // 00000000E12C: 85143C24
	v_readlane_b32 s82, v3, 23                                 // 00000000E130: D2890052 00012F03
	s_and_b32 s82, s82, 0xffffff                               // 00000000E138: 8652FF52 00FFFFFF
	s_cmp_lt_u32 s82, s66                                      // 00000000E140: BF0A4252
	s_cselect_b32 s21, s36, s60                                // 00000000E144: 85153C24
	s_mov_b64 exec, s[20:21]                                   // 00000000E148: BEFE0114
	buffer_store_dword v97, v6, s[8:11], 0 offen               // 00000000E14C: E0701000 80026106
	buffer_store_dword v99, v6, s[8:11], 0 offen offset:128    // 00000000E154: E0701080 80026306
	s_mov_b64 exec, s[36:37]                                   // 00000000E15C: BEFE0124
	v_mov_b32_e32 v6, v70                                      // 00000000E160: 7E0C0346
	s_mov_b64 s[60:61], 0                                      // 00000000E164: BEBC0180
	v_readlane_b32 s82, v3, 24                                 // 00000000E168: D2890052 00013103
	s_and_b32 s82, s82, 0xffffff                               // 00000000E170: 8652FF52 00FFFFFF
	s_cmp_lt_u32 s82, s66                                      // 00000000E178: BF0A4252
	s_cselect_b32 s20, s36, s60                                // 00000000E17C: 85143C24
	v_readlane_b32 s82, v3, 25                                 // 00000000E180: D2890052 00013303
	s_and_b32 s82, s82, 0xffffff                               // 00000000E188: 8652FF52 00FFFFFF
	s_cmp_lt_u32 s82, s66                                      // 00000000E190: BF0A4252
	s_cselect_b32 s21, s36, s60                                // 00000000E194: 85153C24
	s_mov_b64 exec, s[20:21]                                   // 00000000E198: BEFE0114
	buffer_store_dword v100, v6, s[8:11], 0 offen              // 00000000E19C: E0701000 80026406
	buffer_store_dword v102, v6, s[8:11], 0 offen offset:128   // 00000000E1A4: E0701080 80026606
	s_mov_b64 exec, s[36:37]                                   // 00000000E1AC: BEFE0124
	v_mov_b32_e32 v6, v71                                      // 00000000E1B0: 7E0C0347
	s_mov_b64 s[60:61], 0                                      // 00000000E1B4: BEBC0180
	v_readlane_b32 s82, v3, 26                                 // 00000000E1B8: D2890052 00013503
	s_and_b32 s82, s82, 0xffffff                               // 00000000E1C0: 8652FF52 00FFFFFF
	s_cmp_lt_u32 s82, s66                                      // 00000000E1C8: BF0A4252
	s_cselect_b32 s20, s36, s60                                // 00000000E1CC: 85143C24
	v_readlane_b32 s82, v3, 27                                 // 00000000E1D0: D2890052 00013703
	s_and_b32 s82, s82, 0xffffff                               // 00000000E1D8: 8652FF52 00FFFFFF
	s_cmp_lt_u32 s82, s66                                      // 00000000E1E0: BF0A4252
	s_cselect_b32 s21, s36, s60                                // 00000000E1E4: 85153C24
	s_mov_b64 exec, s[20:21]                                   // 00000000E1E8: BEFE0114
	buffer_store_dword v101, v6, s[8:11], 0 offen              // 00000000E1EC: E0701000 80026506
	buffer_store_dword v103, v6, s[8:11], 0 offen offset:128   // 00000000E1F4: E0701080 80026706
	s_mov_b64 exec, s[36:37]                                   // 00000000E1FC: BEFE0124
	s_branch label_3512                                        // 00000000E200: BF82070E

000000000000e204 <label_2E04>:
	ds_write_b64 v20, v[76:77]                                 // 00000000E204: D89A0000 00004C14
	ds_write_b64 v20, v[80:81] offset:4352                     // 00000000E20C: D89A1100 00005014
	ds_write_b64 v20, v[84:85] offset:8704                     // 00000000E214: D89A2200 00005414
	ds_write_b64 v20, v[88:89] offset:13056                    // 00000000E21C: D89A3300 00005814
	ds_write_b64 v20, v[92:93] offset:17408                    // 00000000E224: D89A4400 00005C14
	ds_write_b64 v20, v[96:97] offset:21760                    // 00000000E22C: D89A5500 00006014
	ds_write_b64 v20, v[100:101] offset:26112                  // 00000000E234: D89A6600 00006414
	ds_write_b64 v20, v[104:105] offset:2176                   // 00000000E23C: D89A0880 00006814
	ds_write_b64 v20, v[108:109] offset:6528                   // 00000000E244: D89A1980 00006C14
	ds_write_b64 v20, v[112:113] offset:10880                  // 00000000E24C: D89A2A80 00007014
	ds_write_b64 v20, v[116:117] offset:15232                  // 00000000E254: D89A3B80 00007414
	ds_write_b64 v20, v[120:121] offset:19584                  // 00000000E25C: D89A4C80 00007814
	ds_write_b64 v20, v[124:125] offset:23936                  // 00000000E264: D89A5D80 00007C14
	ds_write_b64 v20, v[128:129] offset:28288                  // 00000000E26C: D89A6E80 00008014
	v_lshrrev_b32_e32 v4, 5, v0                                // 00000000E274: 20080085
	v_xor_b32_e32 v5, 1, v4                                    // 00000000E278: 2A0A0881
	s_mul_i32 s60, s65, 2                                      // 00000000E27C: 923C8241
	s_cmp_eq_u32 s88, 0                                        // 00000000E280: BF068058
	s_cselect_b32 s61, 1, 4                                    // 00000000E284: 853D8481
	s_mul_i32 s60, s61, s60                                    // 00000000E288: 923C3C3D
	v_readlane_b32 s82, v3, 0                                  // 00000000E28C: D2890052 00010103
	s_lshr_b32 s61, s82, 24                                    // 00000000E294: 8F3D9852
	s_and_b32 s82, s82, 0xffffff                               // 00000000E298: 8652FF52 00FFFFFF
	s_mul_i32 s82, s82, s71                                    // 00000000E2A0: 92524752
	s_mul_i32 s61, s60, s61                                    // 00000000E2A4: 923D3D3C
	s_add_u32 s82, s82, s61                                    // 00000000E2A8: 80523D52
	v_mul_lo_u32 v6, v5, s82                                   // 00000000E2AC: D2850006 0000A505
	v_readlane_b32 s82, v3, 1                                  // 00000000E2B4: D2890052 00010303
	s_lshr_b32 s61, s82, 24                                    // 00000000E2BC: 8F3D9852
	s_and_b32 s82, s82, 0xffffff                               // 00000000E2C0: 8652FF52 00FFFFFF
	s_mul_i32 s82, s82, s71                                    // 00000000E2C8: 92524752
	s_mul_i32 s61, s60, s61                                    // 00000000E2CC: 923D3D3C
	s_add_u32 s82, s82, s61                                    // 00000000E2D0: 80523D52
	v_mul_lo_u32 v7, v4, s82                                   // 00000000E2D4: D2850007 0000A504
	v_add_u32_e32 v58, v6, v7                                  // 00000000E2DC: 68740F06
	v_readlane_b32 s82, v3, 2                                  // 00000000E2E0: D2890052 00010503
	s_lshr_b32 s61, s82, 24                                    // 00000000E2E8: 8F3D9852
	s_and_b32 s82, s82, 0xffffff                               // 00000000E2EC: 8652FF52 00FFFFFF
	s_mul_i32 s82, s82, s71                                    // 00000000E2F4: 92524752
	s_mul_i32 s61, s60, s61                                    // 00000000E2F8: 923D3D3C
	s_add_u32 s82, s82, s61                                    // 00000000E2FC: 80523D52
	v_mul_lo_u32 v6, v5, s82                                   // 00000000E300: D2850006 0000A505
	v_readlane_b32 s82, v3, 3                                  // 00000000E308: D2890052 00010703
	s_lshr_b32 s61, s82, 24                                    // 00000000E310: 8F3D9852
	s_and_b32 s82, s82, 0xffffff                               // 00000000E314: 8652FF52 00FFFFFF
	s_mul_i32 s82, s82, s71                                    // 00000000E31C: 92524752
	s_mul_i32 s61, s60, s61                                    // 00000000E320: 923D3D3C
	s_add_u32 s82, s82, s61                                    // 00000000E324: 80523D52
	v_mul_lo_u32 v7, v4, s82                                   // 00000000E328: D2850007 0000A504
	v_add_u32_e32 v59, v6, v7                                  // 00000000E330: 68760F06
	v_readlane_b32 s82, v3, 4                                  // 00000000E334: D2890052 00010903
	s_lshr_b32 s61, s82, 24                                    // 00000000E33C: 8F3D9852
	s_and_b32 s82, s82, 0xffffff                               // 00000000E340: 8652FF52 00FFFFFF
	s_mul_i32 s82, s82, s71                                    // 00000000E348: 92524752
	s_mul_i32 s61, s60, s61                                    // 00000000E34C: 923D3D3C
	s_add_u32 s82, s82, s61                                    // 00000000E350: 80523D52
	v_mul_lo_u32 v6, v5, s82                                   // 00000000E354: D2850006 0000A505
	v_readlane_b32 s82, v3, 5                                  // 00000000E35C: D2890052 00010B03
	s_lshr_b32 s61, s82, 24                                    // 00000000E364: 8F3D9852
	s_and_b32 s82, s82, 0xffffff                               // 00000000E368: 8652FF52 00FFFFFF
	s_mul_i32 s82, s82, s71                                    // 00000000E370: 92524752
	s_mul_i32 s61, s60, s61                                    // 00000000E374: 923D3D3C
	s_add_u32 s82, s82, s61                                    // 00000000E378: 80523D52
	v_mul_lo_u32 v7, v4, s82                                   // 00000000E37C: D2850007 0000A504
	v_add_u32_e32 v60, v6, v7                                  // 00000000E384: 68780F06
	v_readlane_b32 s82, v3, 6                                  // 00000000E388: D2890052 00010D03
	s_lshr_b32 s61, s82, 24                                    // 00000000E390: 8F3D9852
	s_and_b32 s82, s82, 0xffffff                               // 00000000E394: 8652FF52 00FFFFFF
	s_mul_i32 s82, s82, s71                                    // 00000000E39C: 92524752
	s_mul_i32 s61, s60, s61                                    // 00000000E3A0: 923D3D3C
	s_add_u32 s82, s82, s61                                    // 00000000E3A4: 80523D52
	v_mul_lo_u32 v6, v5, s82                                   // 00000000E3A8: D2850006 0000A505
	v_readlane_b32 s82, v3, 7                                  // 00000000E3B0: D2890052 00010F03
	s_lshr_b32 s61, s82, 24                                    // 00000000E3B8: 8F3D9852
	s_and_b32 s82, s82, 0xffffff                               // 00000000E3BC: 8652FF52 00FFFFFF
	s_mul_i32 s82, s82, s71                                    // 00000000E3C4: 92524752
	s_mul_i32 s61, s60, s61                                    // 00000000E3C8: 923D3D3C
	s_add_u32 s82, s82, s61                                    // 00000000E3CC: 80523D52
	v_mul_lo_u32 v7, v4, s82                                   // 00000000E3D0: D2850007 0000A504
	v_add_u32_e32 v61, v6, v7                                  // 00000000E3D8: 687A0F06
	v_readlane_b32 s82, v3, 8                                  // 00000000E3DC: D2890052 00011103
	s_lshr_b32 s61, s82, 24                                    // 00000000E3E4: 8F3D9852
	s_and_b32 s82, s82, 0xffffff                               // 00000000E3E8: 8652FF52 00FFFFFF
	s_mul_i32 s82, s82, s71                                    // 00000000E3F0: 92524752
	s_mul_i32 s61, s60, s61                                    // 00000000E3F4: 923D3D3C
	s_add_u32 s82, s82, s61                                    // 00000000E3F8: 80523D52
	v_mul_lo_u32 v6, v5, s82                                   // 00000000E3FC: D2850006 0000A505
	v_readlane_b32 s82, v3, 9                                  // 00000000E404: D2890052 00011303
	s_lshr_b32 s61, s82, 24                                    // 00000000E40C: 8F3D9852
	s_and_b32 s82, s82, 0xffffff                               // 00000000E410: 8652FF52 00FFFFFF
	s_mul_i32 s82, s82, s71                                    // 00000000E418: 92524752
	s_mul_i32 s61, s60, s61                                    // 00000000E41C: 923D3D3C
	s_add_u32 s82, s82, s61                                    // 00000000E420: 80523D52
	v_mul_lo_u32 v7, v4, s82                                   // 00000000E424: D2850007 0000A504
	v_add_u32_e32 v62, v6, v7                                  // 00000000E42C: 687C0F06
	v_readlane_b32 s82, v3, 10                                 // 00000000E430: D2890052 00011503
	s_lshr_b32 s61, s82, 24                                    // 00000000E438: 8F3D9852
	s_and_b32 s82, s82, 0xffffff                               // 00000000E43C: 8652FF52 00FFFFFF
	s_mul_i32 s82, s82, s71                                    // 00000000E444: 92524752
	s_mul_i32 s61, s60, s61                                    // 00000000E448: 923D3D3C
	s_add_u32 s82, s82, s61                                    // 00000000E44C: 80523D52
	v_mul_lo_u32 v6, v5, s82                                   // 00000000E450: D2850006 0000A505
	v_readlane_b32 s82, v3, 11                                 // 00000000E458: D2890052 00011703
	s_lshr_b32 s61, s82, 24                                    // 00000000E460: 8F3D9852
	s_and_b32 s82, s82, 0xffffff                               // 00000000E464: 8652FF52 00FFFFFF
	s_mul_i32 s82, s82, s71                                    // 00000000E46C: 92524752
	s_mul_i32 s61, s60, s61                                    // 00000000E470: 923D3D3C
	s_add_u32 s82, s82, s61                                    // 00000000E474: 80523D52
	v_mul_lo_u32 v7, v4, s82                                   // 00000000E478: D2850007 0000A504
	v_add_u32_e32 v63, v6, v7                                  // 00000000E480: 687E0F06
	v_readlane_b32 s82, v3, 12                                 // 00000000E484: D2890052 00011903
	s_lshr_b32 s61, s82, 24                                    // 00000000E48C: 8F3D9852
	s_and_b32 s82, s82, 0xffffff                               // 00000000E490: 8652FF52 00FFFFFF
	s_mul_i32 s82, s82, s71                                    // 00000000E498: 92524752
	s_mul_i32 s61, s60, s61                                    // 00000000E49C: 923D3D3C
	s_add_u32 s82, s82, s61                                    // 00000000E4A0: 80523D52
	v_mul_lo_u32 v6, v5, s82                                   // 00000000E4A4: D2850006 0000A505
	v_readlane_b32 s82, v3, 13                                 // 00000000E4AC: D2890052 00011B03
	s_lshr_b32 s61, s82, 24                                    // 00000000E4B4: 8F3D9852
	s_and_b32 s82, s82, 0xffffff                               // 00000000E4B8: 8652FF52 00FFFFFF
	s_mul_i32 s82, s82, s71                                    // 00000000E4C0: 92524752
	s_mul_i32 s61, s60, s61                                    // 00000000E4C4: 923D3D3C
	s_add_u32 s82, s82, s61                                    // 00000000E4C8: 80523D52
	v_mul_lo_u32 v7, v4, s82                                   // 00000000E4CC: D2850007 0000A504
	v_add_u32_e32 v64, v6, v7                                  // 00000000E4D4: 68800F06
	v_readlane_b32 s82, v3, 14                                 // 00000000E4D8: D2890052 00011D03
	s_lshr_b32 s61, s82, 24                                    // 00000000E4E0: 8F3D9852
	s_and_b32 s82, s82, 0xffffff                               // 00000000E4E4: 8652FF52 00FFFFFF
	s_mul_i32 s82, s82, s71                                    // 00000000E4EC: 92524752
	s_mul_i32 s61, s60, s61                                    // 00000000E4F0: 923D3D3C
	s_add_u32 s82, s82, s61                                    // 00000000E4F4: 80523D52
	v_mul_lo_u32 v6, v5, s82                                   // 00000000E4F8: D2850006 0000A505
	v_readlane_b32 s82, v3, 15                                 // 00000000E500: D2890052 00011F03
	s_lshr_b32 s61, s82, 24                                    // 00000000E508: 8F3D9852
	s_and_b32 s82, s82, 0xffffff                               // 00000000E50C: 8652FF52 00FFFFFF
	s_mul_i32 s82, s82, s71                                    // 00000000E514: 92524752
	s_mul_i32 s61, s60, s61                                    // 00000000E518: 923D3D3C
	s_add_u32 s82, s82, s61                                    // 00000000E51C: 80523D52
	v_mul_lo_u32 v7, v4, s82                                   // 00000000E520: D2850007 0000A504
	v_add_u32_e32 v65, v6, v7                                  // 00000000E528: 68820F06
	v_readlane_b32 s82, v3, 16                                 // 00000000E52C: D2890052 00012103
	s_lshr_b32 s61, s82, 24                                    // 00000000E534: 8F3D9852
	s_and_b32 s82, s82, 0xffffff                               // 00000000E538: 8652FF52 00FFFFFF
	s_mul_i32 s82, s82, s71                                    // 00000000E540: 92524752
	s_mul_i32 s61, s60, s61                                    // 00000000E544: 923D3D3C
	s_add_u32 s82, s82, s61                                    // 00000000E548: 80523D52
	v_mul_lo_u32 v6, v5, s82                                   // 00000000E54C: D2850006 0000A505
	v_readlane_b32 s82, v3, 17                                 // 00000000E554: D2890052 00012303
	s_lshr_b32 s61, s82, 24                                    // 00000000E55C: 8F3D9852
	s_and_b32 s82, s82, 0xffffff                               // 00000000E560: 8652FF52 00FFFFFF
	s_mul_i32 s82, s82, s71                                    // 00000000E568: 92524752
	s_mul_i32 s61, s60, s61                                    // 00000000E56C: 923D3D3C
	s_add_u32 s82, s82, s61                                    // 00000000E570: 80523D52
	v_mul_lo_u32 v7, v4, s82                                   // 00000000E574: D2850007 0000A504
	v_add_u32_e32 v66, v6, v7                                  // 00000000E57C: 68840F06
	v_readlane_b32 s82, v3, 18                                 // 00000000E580: D2890052 00012503
	s_lshr_b32 s61, s82, 24                                    // 00000000E588: 8F3D9852
	s_and_b32 s82, s82, 0xffffff                               // 00000000E58C: 8652FF52 00FFFFFF
	s_mul_i32 s82, s82, s71                                    // 00000000E594: 92524752
	s_mul_i32 s61, s60, s61                                    // 00000000E598: 923D3D3C
	s_add_u32 s82, s82, s61                                    // 00000000E59C: 80523D52
	v_mul_lo_u32 v6, v5, s82                                   // 00000000E5A0: D2850006 0000A505
	v_readlane_b32 s82, v3, 19                                 // 00000000E5A8: D2890052 00012703
	s_lshr_b32 s61, s82, 24                                    // 00000000E5B0: 8F3D9852
	s_and_b32 s82, s82, 0xffffff                               // 00000000E5B4: 8652FF52 00FFFFFF
	s_mul_i32 s82, s82, s71                                    // 00000000E5BC: 92524752
	s_mul_i32 s61, s60, s61                                    // 00000000E5C0: 923D3D3C
	s_add_u32 s82, s82, s61                                    // 00000000E5C4: 80523D52
	v_mul_lo_u32 v7, v4, s82                                   // 00000000E5C8: D2850007 0000A504
	v_add_u32_e32 v67, v6, v7                                  // 00000000E5D0: 68860F06
	v_readlane_b32 s82, v3, 20                                 // 00000000E5D4: D2890052 00012903
	s_lshr_b32 s61, s82, 24                                    // 00000000E5DC: 8F3D9852
	s_and_b32 s82, s82, 0xffffff                               // 00000000E5E0: 8652FF52 00FFFFFF
	s_mul_i32 s82, s82, s71                                    // 00000000E5E8: 92524752
	s_mul_i32 s61, s60, s61                                    // 00000000E5EC: 923D3D3C
	s_add_u32 s82, s82, s61                                    // 00000000E5F0: 80523D52
	v_mul_lo_u32 v6, v5, s82                                   // 00000000E5F4: D2850006 0000A505
	v_readlane_b32 s82, v3, 21                                 // 00000000E5FC: D2890052 00012B03
	s_lshr_b32 s61, s82, 24                                    // 00000000E604: 8F3D9852
	s_and_b32 s82, s82, 0xffffff                               // 00000000E608: 8652FF52 00FFFFFF
	s_mul_i32 s82, s82, s71                                    // 00000000E610: 92524752
	s_mul_i32 s61, s60, s61                                    // 00000000E614: 923D3D3C
	s_add_u32 s82, s82, s61                                    // 00000000E618: 80523D52
	v_mul_lo_u32 v7, v4, s82                                   // 00000000E61C: D2850007 0000A504
	v_add_u32_e32 v68, v6, v7                                  // 00000000E624: 68880F06
	v_readlane_b32 s82, v3, 22                                 // 00000000E628: D2890052 00012D03
	s_lshr_b32 s61, s82, 24                                    // 00000000E630: 8F3D9852
	s_and_b32 s82, s82, 0xffffff                               // 00000000E634: 8652FF52 00FFFFFF
	s_mul_i32 s82, s82, s71                                    // 00000000E63C: 92524752
	s_mul_i32 s61, s60, s61                                    // 00000000E640: 923D3D3C
	s_add_u32 s82, s82, s61                                    // 00000000E644: 80523D52
	v_mul_lo_u32 v6, v5, s82                                   // 00000000E648: D2850006 0000A505
	v_readlane_b32 s82, v3, 23                                 // 00000000E650: D2890052 00012F03
	s_lshr_b32 s61, s82, 24                                    // 00000000E658: 8F3D9852
	s_and_b32 s82, s82, 0xffffff                               // 00000000E65C: 8652FF52 00FFFFFF
	s_mul_i32 s82, s82, s71                                    // 00000000E664: 92524752
	s_mul_i32 s61, s60, s61                                    // 00000000E668: 923D3D3C
	s_add_u32 s82, s82, s61                                    // 00000000E66C: 80523D52
	v_mul_lo_u32 v7, v4, s82                                   // 00000000E670: D2850007 0000A504
	v_add_u32_e32 v69, v6, v7                                  // 00000000E678: 688A0F06
	v_readlane_b32 s82, v3, 24                                 // 00000000E67C: D2890052 00013103
	s_lshr_b32 s61, s82, 24                                    // 00000000E684: 8F3D9852
	s_and_b32 s82, s82, 0xffffff                               // 00000000E688: 8652FF52 00FFFFFF
	s_mul_i32 s82, s82, s71                                    // 00000000E690: 92524752
	s_mul_i32 s61, s60, s61                                    // 00000000E694: 923D3D3C
	s_add_u32 s82, s82, s61                                    // 00000000E698: 80523D52
	v_mul_lo_u32 v6, v5, s82                                   // 00000000E69C: D2850006 0000A505
	v_readlane_b32 s82, v3, 25                                 // 00000000E6A4: D2890052 00013303
	s_lshr_b32 s61, s82, 24                                    // 00000000E6AC: 8F3D9852
	s_and_b32 s82, s82, 0xffffff                               // 00000000E6B0: 8652FF52 00FFFFFF
	s_mul_i32 s82, s82, s71                                    // 00000000E6B8: 92524752
	s_mul_i32 s61, s60, s61                                    // 00000000E6BC: 923D3D3C
	s_add_u32 s82, s82, s61                                    // 00000000E6C0: 80523D52
	v_mul_lo_u32 v7, v4, s82                                   // 00000000E6C4: D2850007 0000A504
	v_add_u32_e32 v70, v6, v7                                  // 00000000E6CC: 688C0F06
	v_readlane_b32 s82, v3, 26                                 // 00000000E6D0: D2890052 00013503
	s_lshr_b32 s61, s82, 24                                    // 00000000E6D8: 8F3D9852
	s_and_b32 s82, s82, 0xffffff                               // 00000000E6DC: 8652FF52 00FFFFFF
	s_mul_i32 s82, s82, s71                                    // 00000000E6E4: 92524752
	s_mul_i32 s61, s60, s61                                    // 00000000E6E8: 923D3D3C
	s_add_u32 s82, s82, s61                                    // 00000000E6EC: 80523D52
	v_mul_lo_u32 v6, v5, s82                                   // 00000000E6F0: D2850006 0000A505
	v_readlane_b32 s82, v3, 27                                 // 00000000E6F8: D2890052 00013703
	s_lshr_b32 s61, s82, 24                                    // 00000000E700: 8F3D9852
	s_and_b32 s82, s82, 0xffffff                               // 00000000E704: 8652FF52 00FFFFFF
	s_mul_i32 s82, s82, s71                                    // 00000000E70C: 92524752
	s_mul_i32 s61, s60, s61                                    // 00000000E710: 923D3D3C
	s_add_u32 s82, s82, s61                                    // 00000000E714: 80523D52
	v_mul_lo_u32 v7, v4, s82                                   // 00000000E718: D2850007 0000A504
	v_add_u32_e32 v71, v6, v7                                  // 00000000E720: 688E0F06
	v_and_b32_e32 v4, 31, v0                                   // 00000000E724: 2608009F
	v_lshrrev_b32_e32 v4, 1, v4                                // 00000000E728: 20080881
	s_cmp_eq_u32 s88, 0                                        // 00000000E72C: BF068058
	s_cselect_b32 s61, 2, 4                                    // 00000000E730: 853D8482
	v_mul_lo_u32 v4, v4, s61                                   // 00000000E734: D2850004 00007B04
	v_and_b32_e64 v5, v0, 1                                    // 00000000E73C: D1130005 00010300
	v_add_u32_e32 v4, v4, v5                                   // 00000000E744: 68080B04
	v_lshlrev_b32_e32 v4, 2, v4                                // 00000000E748: 24080882
	v_add_u32_e32 v58, v58, v4                                 // 00000000E74C: 6874093A
	v_add_u32_e32 v59, v59, v4                                 // 00000000E750: 6876093B
	v_add_u32_e32 v60, v60, v4                                 // 00000000E754: 6878093C
	v_add_u32_e32 v61, v61, v4                                 // 00000000E758: 687A093D
	v_add_u32_e32 v62, v62, v4                                 // 00000000E75C: 687C093E
	v_add_u32_e32 v63, v63, v4                                 // 00000000E760: 687E093F
	v_add_u32_e32 v64, v64, v4                                 // 00000000E764: 68800940
	v_add_u32_e32 v65, v65, v4                                 // 00000000E768: 68820941
	v_add_u32_e32 v66, v66, v4                                 // 00000000E76C: 68840942
	v_add_u32_e32 v67, v67, v4                                 // 00000000E770: 68860943
	v_add_u32_e32 v68, v68, v4                                 // 00000000E774: 68880944
	v_add_u32_e32 v69, v69, v4                                 // 00000000E778: 688A0945
	v_add_u32_e32 v70, v70, v4                                 // 00000000E77C: 688C0946
	v_add_u32_e32 v71, v71, v4                                 // 00000000E780: 688E0947
	s_waitcnt lgkmcnt(0)                                       // 00000000E784: BF8CC07F
	s_barrier                                                  // 00000000E788: BF8A0000
	ds_read_b32 v76, v21                                       // 00000000E78C: D86C0000 4C000015
	ds_read_b32 v77, v21 offset:64                             // 00000000E794: D86C0040 4D000015
	ds_read_b32 v80, v21 offset:2176                           // 00000000E79C: D86C0880 50000015
	ds_read_b32 v81, v21 offset:2240                           // 00000000E7A4: D86C08C0 51000015
	ds_read_b32 v84, v21 offset:4352                           // 00000000E7AC: D86C1100 54000015
	ds_read_b32 v85, v21 offset:4416                           // 00000000E7B4: D86C1140 55000015
	ds_read_b32 v88, v21 offset:6528                           // 00000000E7BC: D86C1980 58000015
	ds_read_b32 v89, v21 offset:6592                           // 00000000E7C4: D86C19C0 59000015
	ds_read_b32 v92, v21 offset:8704                           // 00000000E7CC: D86C2200 5C000015
	ds_read_b32 v93, v21 offset:8768                           // 00000000E7D4: D86C2240 5D000015
	ds_read_b32 v96, v21 offset:10880                          // 00000000E7DC: D86C2A80 60000015
	ds_read_b32 v97, v21 offset:10944                          // 00000000E7E4: D86C2AC0 61000015
	ds_read_b32 v100, v21 offset:13056                         // 00000000E7EC: D86C3300 64000015
	ds_read_b32 v101, v21 offset:13120                         // 00000000E7F4: D86C3340 65000015
	ds_read_b32 v104, v21 offset:15232                         // 00000000E7FC: D86C3B80 68000015
	ds_read_b32 v105, v21 offset:15296                         // 00000000E804: D86C3BC0 69000015
	ds_read_b32 v108, v21 offset:17408                         // 00000000E80C: D86C4400 6C000015
	ds_read_b32 v109, v21 offset:17472                         // 00000000E814: D86C4440 6D000015
	ds_read_b32 v112, v21 offset:19584                         // 00000000E81C: D86C4C80 70000015
	ds_read_b32 v113, v21 offset:19648                         // 00000000E824: D86C4CC0 71000015
	ds_read_b32 v116, v21 offset:21760                         // 00000000E82C: D86C5500 74000015
	ds_read_b32 v117, v21 offset:21824                         // 00000000E834: D86C5540 75000015
	ds_read_b32 v120, v21 offset:23936                         // 00000000E83C: D86C5D80 78000015
	ds_read_b32 v121, v21 offset:24000                         // 00000000E844: D86C5DC0 79000015
	ds_read_b32 v124, v21 offset:26112                         // 00000000E84C: D86C6600 7C000015
	ds_read_b32 v125, v21 offset:26176                         // 00000000E854: D86C6640 7D000015
	ds_read_b32 v128, v21 offset:28288                         // 00000000E85C: D86C6E80 80000015
	ds_read_b32 v129, v21 offset:28352                         // 00000000E864: D86C6EC0 81000015
	s_waitcnt lgkmcnt(0)                                       // 00000000E86C: BF8CC07F
	s_mov_b32 s36, -1                                          // 00000000E870: BEA400C1
	s_mov_b32 s37, -1                                          // 00000000E874: BEA500C1
	v_mov_b32_e32 v7, 0                                        // 00000000E878: 7E0E0280
	s_mov_b64 exec, s[36:37]                                   // 00000000E87C: BEFE0124
	v_mov_b32_e32 v6, v58                                      // 00000000E880: 7E0C033A
	s_mov_b64 s[60:61], 0                                      // 00000000E884: BEBC0180
	v_readlane_b32 s82, v3, 0                                  // 00000000E888: D2890052 00010103
	s_and_b32 s82, s82, 0xffffff                               // 00000000E890: 8652FF52 00FFFFFF
	s_cmp_lt_u32 s82, s66                                      // 00000000E898: BF0A4252
	s_cselect_b32 s20, s36, s60                                // 00000000E89C: 85143C24
	v_readlane_b32 s82, v3, 1                                  // 00000000E8A0: D2890052 00010303
	s_and_b32 s82, s82, 0xffffff                               // 00000000E8A8: 8652FF52 00FFFFFF
	s_cmp_lt_u32 s82, s66                                      // 00000000E8B0: BF0A4252
	s_cselect_b32 s21, s36, s60                                // 00000000E8B4: 85153C24
	s_mov_b64 exec, s[20:21]                                   // 00000000E8B8: BEFE0114
	global_atomic_add_f32 v6, v76, s[8:9]                      // 00000000E8BC: DD348000 00084C06
	global_atomic_add_f32 v6, v80, s[8:9] offset:256           // 00000000E8C4: DD348100 00085006
	s_mov_b64 exec, s[36:37]                                   // 00000000E8CC: BEFE0124
	v_mov_b32_e32 v6, v59                                      // 00000000E8D0: 7E0C033B
	s_mov_b64 s[60:61], 0                                      // 00000000E8D4: BEBC0180
	v_readlane_b32 s82, v3, 2                                  // 00000000E8D8: D2890052 00010503
	s_and_b32 s82, s82, 0xffffff                               // 00000000E8E0: 8652FF52 00FFFFFF
	s_cmp_lt_u32 s82, s66                                      // 00000000E8E8: BF0A4252
	s_cselect_b32 s20, s36, s60                                // 00000000E8EC: 85143C24
	v_readlane_b32 s82, v3, 3                                  // 00000000E8F0: D2890052 00010703
	s_and_b32 s82, s82, 0xffffff                               // 00000000E8F8: 8652FF52 00FFFFFF
	s_cmp_lt_u32 s82, s66                                      // 00000000E900: BF0A4252
	s_cselect_b32 s21, s36, s60                                // 00000000E904: 85153C24
	s_mov_b64 exec, s[20:21]                                   // 00000000E908: BEFE0114
	global_atomic_add_f32 v6, v77, s[8:9]                      // 00000000E90C: DD348000 00084D06
	global_atomic_add_f32 v6, v81, s[8:9] offset:256           // 00000000E914: DD348100 00085106
	s_mov_b64 exec, s[36:37]                                   // 00000000E91C: BEFE0124
	v_mov_b32_e32 v6, v60                                      // 00000000E920: 7E0C033C
	s_mov_b64 s[60:61], 0                                      // 00000000E924: BEBC0180
	v_readlane_b32 s82, v3, 4                                  // 00000000E928: D2890052 00010903
	s_and_b32 s82, s82, 0xffffff                               // 00000000E930: 8652FF52 00FFFFFF
	s_cmp_lt_u32 s82, s66                                      // 00000000E938: BF0A4252
	s_cselect_b32 s20, s36, s60                                // 00000000E93C: 85143C24
	v_readlane_b32 s82, v3, 5                                  // 00000000E940: D2890052 00010B03
	s_and_b32 s82, s82, 0xffffff                               // 00000000E948: 8652FF52 00FFFFFF
	s_cmp_lt_u32 s82, s66                                      // 00000000E950: BF0A4252
	s_cselect_b32 s21, s36, s60                                // 00000000E954: 85153C24
	s_mov_b64 exec, s[20:21]                                   // 00000000E958: BEFE0114
	global_atomic_add_f32 v6, v84, s[8:9]                      // 00000000E95C: DD348000 00085406
	global_atomic_add_f32 v6, v88, s[8:9] offset:256           // 00000000E964: DD348100 00085806
	s_mov_b64 exec, s[36:37]                                   // 00000000E96C: BEFE0124
	v_mov_b32_e32 v6, v61                                      // 00000000E970: 7E0C033D
	s_mov_b64 s[60:61], 0                                      // 00000000E974: BEBC0180
	v_readlane_b32 s82, v3, 6                                  // 00000000E978: D2890052 00010D03
	s_and_b32 s82, s82, 0xffffff                               // 00000000E980: 8652FF52 00FFFFFF
	s_cmp_lt_u32 s82, s66                                      // 00000000E988: BF0A4252
	s_cselect_b32 s20, s36, s60                                // 00000000E98C: 85143C24
	v_readlane_b32 s82, v3, 7                                  // 00000000E990: D2890052 00010F03
	s_and_b32 s82, s82, 0xffffff                               // 00000000E998: 8652FF52 00FFFFFF
	s_cmp_lt_u32 s82, s66                                      // 00000000E9A0: BF0A4252
	s_cselect_b32 s21, s36, s60                                // 00000000E9A4: 85153C24
	s_mov_b64 exec, s[20:21]                                   // 00000000E9A8: BEFE0114
	global_atomic_add_f32 v6, v85, s[8:9]                      // 00000000E9AC: DD348000 00085506
	global_atomic_add_f32 v6, v89, s[8:9] offset:256           // 00000000E9B4: DD348100 00085906
	s_mov_b64 exec, s[36:37]                                   // 00000000E9BC: BEFE0124
	v_mov_b32_e32 v6, v62                                      // 00000000E9C0: 7E0C033E
	s_mov_b64 s[60:61], 0                                      // 00000000E9C4: BEBC0180
	v_readlane_b32 s82, v3, 8                                  // 00000000E9C8: D2890052 00011103
	s_and_b32 s82, s82, 0xffffff                               // 00000000E9D0: 8652FF52 00FFFFFF
	s_cmp_lt_u32 s82, s66                                      // 00000000E9D8: BF0A4252
	s_cselect_b32 s20, s36, s60                                // 00000000E9DC: 85143C24
	v_readlane_b32 s82, v3, 9                                  // 00000000E9E0: D2890052 00011303
	s_and_b32 s82, s82, 0xffffff                               // 00000000E9E8: 8652FF52 00FFFFFF
	s_cmp_lt_u32 s82, s66                                      // 00000000E9F0: BF0A4252
	s_cselect_b32 s21, s36, s60                                // 00000000E9F4: 85153C24
	s_mov_b64 exec, s[20:21]                                   // 00000000E9F8: BEFE0114
	global_atomic_add_f32 v6, v92, s[8:9]                      // 00000000E9FC: DD348000 00085C06
	global_atomic_add_f32 v6, v96, s[8:9] offset:256           // 00000000EA04: DD348100 00086006
	s_mov_b64 exec, s[36:37]                                   // 00000000EA0C: BEFE0124
	v_mov_b32_e32 v6, v63                                      // 00000000EA10: 7E0C033F
	s_mov_b64 s[60:61], 0                                      // 00000000EA14: BEBC0180
	v_readlane_b32 s82, v3, 10                                 // 00000000EA18: D2890052 00011503
	s_and_b32 s82, s82, 0xffffff                               // 00000000EA20: 8652FF52 00FFFFFF
	s_cmp_lt_u32 s82, s66                                      // 00000000EA28: BF0A4252
	s_cselect_b32 s20, s36, s60                                // 00000000EA2C: 85143C24
	v_readlane_b32 s82, v3, 11                                 // 00000000EA30: D2890052 00011703
	s_and_b32 s82, s82, 0xffffff                               // 00000000EA38: 8652FF52 00FFFFFF
	s_cmp_lt_u32 s82, s66                                      // 00000000EA40: BF0A4252
	s_cselect_b32 s21, s36, s60                                // 00000000EA44: 85153C24
	s_mov_b64 exec, s[20:21]                                   // 00000000EA48: BEFE0114
	global_atomic_add_f32 v6, v93, s[8:9]                      // 00000000EA4C: DD348000 00085D06
	global_atomic_add_f32 v6, v97, s[8:9] offset:256           // 00000000EA54: DD348100 00086106
	s_mov_b64 exec, s[36:37]                                   // 00000000EA5C: BEFE0124
	v_mov_b32_e32 v6, v64                                      // 00000000EA60: 7E0C0340
	s_mov_b64 s[60:61], 0                                      // 00000000EA64: BEBC0180
	v_readlane_b32 s82, v3, 12                                 // 00000000EA68: D2890052 00011903
	s_and_b32 s82, s82, 0xffffff                               // 00000000EA70: 8652FF52 00FFFFFF
	s_cmp_lt_u32 s82, s66                                      // 00000000EA78: BF0A4252
	s_cselect_b32 s20, s36, s60                                // 00000000EA7C: 85143C24
	v_readlane_b32 s82, v3, 13                                 // 00000000EA80: D2890052 00011B03
	s_and_b32 s82, s82, 0xffffff                               // 00000000EA88: 8652FF52 00FFFFFF
	s_cmp_lt_u32 s82, s66                                      // 00000000EA90: BF0A4252
	s_cselect_b32 s21, s36, s60                                // 00000000EA94: 85153C24
	s_mov_b64 exec, s[20:21]                                   // 00000000EA98: BEFE0114
	global_atomic_add_f32 v6, v100, s[8:9]                     // 00000000EA9C: DD348000 00086406
	global_atomic_add_f32 v6, v104, s[8:9] offset:256          // 00000000EAA4: DD348100 00086806
	s_mov_b64 exec, s[36:37]                                   // 00000000EAAC: BEFE0124
	v_mov_b32_e32 v6, v65                                      // 00000000EAB0: 7E0C0341
	s_mov_b64 s[60:61], 0                                      // 00000000EAB4: BEBC0180
	v_readlane_b32 s82, v3, 14                                 // 00000000EAB8: D2890052 00011D03
	s_and_b32 s82, s82, 0xffffff                               // 00000000EAC0: 8652FF52 00FFFFFF
	s_cmp_lt_u32 s82, s66                                      // 00000000EAC8: BF0A4252
	s_cselect_b32 s20, s36, s60                                // 00000000EACC: 85143C24
	v_readlane_b32 s82, v3, 15                                 // 00000000EAD0: D2890052 00011F03
	s_and_b32 s82, s82, 0xffffff                               // 00000000EAD8: 8652FF52 00FFFFFF
	s_cmp_lt_u32 s82, s66                                      // 00000000EAE0: BF0A4252
	s_cselect_b32 s21, s36, s60                                // 00000000EAE4: 85153C24
	s_mov_b64 exec, s[20:21]                                   // 00000000EAE8: BEFE0114
	global_atomic_add_f32 v6, v101, s[8:9]                     // 00000000EAEC: DD348000 00086506
	global_atomic_add_f32 v6, v105, s[8:9] offset:256          // 00000000EAF4: DD348100 00086906
	s_mov_b64 exec, s[36:37]                                   // 00000000EAFC: BEFE0124
	v_mov_b32_e32 v6, v66                                      // 00000000EB00: 7E0C0342
	s_mov_b64 s[60:61], 0                                      // 00000000EB04: BEBC0180
	v_readlane_b32 s82, v3, 16                                 // 00000000EB08: D2890052 00012103
	s_and_b32 s82, s82, 0xffffff                               // 00000000EB10: 8652FF52 00FFFFFF
	s_cmp_lt_u32 s82, s66                                      // 00000000EB18: BF0A4252
	s_cselect_b32 s20, s36, s60                                // 00000000EB1C: 85143C24
	v_readlane_b32 s82, v3, 17                                 // 00000000EB20: D2890052 00012303
	s_and_b32 s82, s82, 0xffffff                               // 00000000EB28: 8652FF52 00FFFFFF
	s_cmp_lt_u32 s82, s66                                      // 00000000EB30: BF0A4252
	s_cselect_b32 s21, s36, s60                                // 00000000EB34: 85153C24
	s_mov_b64 exec, s[20:21]                                   // 00000000EB38: BEFE0114
	global_atomic_add_f32 v6, v108, s[8:9]                     // 00000000EB3C: DD348000 00086C06
	global_atomic_add_f32 v6, v112, s[8:9] offset:256          // 00000000EB44: DD348100 00087006
	s_mov_b64 exec, s[36:37]                                   // 00000000EB4C: BEFE0124
	v_mov_b32_e32 v6, v67                                      // 00000000EB50: 7E0C0343
	s_mov_b64 s[60:61], 0                                      // 00000000EB54: BEBC0180
	v_readlane_b32 s82, v3, 18                                 // 00000000EB58: D2890052 00012503
	s_and_b32 s82, s82, 0xffffff                               // 00000000EB60: 8652FF52 00FFFFFF
	s_cmp_lt_u32 s82, s66                                      // 00000000EB68: BF0A4252
	s_cselect_b32 s20, s36, s60                                // 00000000EB6C: 85143C24
	v_readlane_b32 s82, v3, 19                                 // 00000000EB70: D2890052 00012703
	s_and_b32 s82, s82, 0xffffff                               // 00000000EB78: 8652FF52 00FFFFFF
	s_cmp_lt_u32 s82, s66                                      // 00000000EB80: BF0A4252
	s_cselect_b32 s21, s36, s60                                // 00000000EB84: 85153C24
	s_mov_b64 exec, s[20:21]                                   // 00000000EB88: BEFE0114
	global_atomic_add_f32 v6, v109, s[8:9]                     // 00000000EB8C: DD348000 00086D06
	global_atomic_add_f32 v6, v113, s[8:9] offset:256          // 00000000EB94: DD348100 00087106
	s_mov_b64 exec, s[36:37]                                   // 00000000EB9C: BEFE0124
	v_mov_b32_e32 v6, v68                                      // 00000000EBA0: 7E0C0344
	s_mov_b64 s[60:61], 0                                      // 00000000EBA4: BEBC0180
	v_readlane_b32 s82, v3, 20                                 // 00000000EBA8: D2890052 00012903
	s_and_b32 s82, s82, 0xffffff                               // 00000000EBB0: 8652FF52 00FFFFFF
	s_cmp_lt_u32 s82, s66                                      // 00000000EBB8: BF0A4252
	s_cselect_b32 s20, s36, s60                                // 00000000EBBC: 85143C24
	v_readlane_b32 s82, v3, 21                                 // 00000000EBC0: D2890052 00012B03
	s_and_b32 s82, s82, 0xffffff                               // 00000000EBC8: 8652FF52 00FFFFFF
	s_cmp_lt_u32 s82, s66                                      // 00000000EBD0: BF0A4252
	s_cselect_b32 s21, s36, s60                                // 00000000EBD4: 85153C24
	s_mov_b64 exec, s[20:21]                                   // 00000000EBD8: BEFE0114
	global_atomic_add_f32 v6, v116, s[8:9]                     // 00000000EBDC: DD348000 00087406
	global_atomic_add_f32 v6, v120, s[8:9] offset:256          // 00000000EBE4: DD348100 00087806
	s_mov_b64 exec, s[36:37]                                   // 00000000EBEC: BEFE0124
	v_mov_b32_e32 v6, v69                                      // 00000000EBF0: 7E0C0345
	s_mov_b64 s[60:61], 0                                      // 00000000EBF4: BEBC0180
	v_readlane_b32 s82, v3, 22                                 // 00000000EBF8: D2890052 00012D03
	s_and_b32 s82, s82, 0xffffff                               // 00000000EC00: 8652FF52 00FFFFFF
	s_cmp_lt_u32 s82, s66                                      // 00000000EC08: BF0A4252
	s_cselect_b32 s20, s36, s60                                // 00000000EC0C: 85143C24
	v_readlane_b32 s82, v3, 23                                 // 00000000EC10: D2890052 00012F03
	s_and_b32 s82, s82, 0xffffff                               // 00000000EC18: 8652FF52 00FFFFFF
	s_cmp_lt_u32 s82, s66                                      // 00000000EC20: BF0A4252
	s_cselect_b32 s21, s36, s60                                // 00000000EC24: 85153C24
	s_mov_b64 exec, s[20:21]                                   // 00000000EC28: BEFE0114
	global_atomic_add_f32 v6, v117, s[8:9]                     // 00000000EC2C: DD348000 00087506
	global_atomic_add_f32 v6, v121, s[8:9] offset:256          // 00000000EC34: DD348100 00087906
	s_mov_b64 exec, s[36:37]                                   // 00000000EC3C: BEFE0124
	v_mov_b32_e32 v6, v70                                      // 00000000EC40: 7E0C0346
	s_mov_b64 s[60:61], 0                                      // 00000000EC44: BEBC0180
	v_readlane_b32 s82, v3, 24                                 // 00000000EC48: D2890052 00013103
	s_and_b32 s82, s82, 0xffffff                               // 00000000EC50: 8652FF52 00FFFFFF
	s_cmp_lt_u32 s82, s66                                      // 00000000EC58: BF0A4252
	s_cselect_b32 s20, s36, s60                                // 00000000EC5C: 85143C24
	v_readlane_b32 s82, v3, 25                                 // 00000000EC60: D2890052 00013303
	s_and_b32 s82, s82, 0xffffff                               // 00000000EC68: 8652FF52 00FFFFFF
	s_cmp_lt_u32 s82, s66                                      // 00000000EC70: BF0A4252
	s_cselect_b32 s21, s36, s60                                // 00000000EC74: 85153C24
	s_mov_b64 exec, s[20:21]                                   // 00000000EC78: BEFE0114
	global_atomic_add_f32 v6, v124, s[8:9]                     // 00000000EC7C: DD348000 00087C06
	global_atomic_add_f32 v6, v128, s[8:9] offset:256          // 00000000EC84: DD348100 00088006
	s_mov_b64 exec, s[36:37]                                   // 00000000EC8C: BEFE0124
	v_mov_b32_e32 v6, v71                                      // 00000000EC90: 7E0C0347
	s_mov_b64 s[60:61], 0                                      // 00000000EC94: BEBC0180
	v_readlane_b32 s82, v3, 26                                 // 00000000EC98: D2890052 00013503
	s_and_b32 s82, s82, 0xffffff                               // 00000000ECA0: 8652FF52 00FFFFFF
	s_cmp_lt_u32 s82, s66                                      // 00000000ECA8: BF0A4252
	s_cselect_b32 s20, s36, s60                                // 00000000ECAC: 85143C24
	v_readlane_b32 s82, v3, 27                                 // 00000000ECB0: D2890052 00013703
	s_and_b32 s82, s82, 0xffffff                               // 00000000ECB8: 8652FF52 00FFFFFF
	s_cmp_lt_u32 s82, s66                                      // 00000000ECC0: BF0A4252
	s_cselect_b32 s21, s36, s60                                // 00000000ECC4: 85153C24
	s_mov_b64 exec, s[20:21]                                   // 00000000ECC8: BEFE0114
	global_atomic_add_f32 v6, v125, s[8:9]                     // 00000000ECCC: DD348000 00087D06
	global_atomic_add_f32 v6, v129, s[8:9] offset:256          // 00000000ECD4: DD348100 00088106
	s_mov_b64 exec, s[36:37]                                   // 00000000ECDC: BEFE0124
	ds_write_b64 v20, v[78:79]                                 // 00000000ECE0: D89A0000 00004E14
	ds_write_b64 v20, v[82:83] offset:4352                     // 00000000ECE8: D89A1100 00005214
	ds_write_b64 v20, v[86:87] offset:8704                     // 00000000ECF0: D89A2200 00005614
	ds_write_b64 v20, v[90:91] offset:13056                    // 00000000ECF8: D89A3300 00005A14
	ds_write_b64 v20, v[94:95] offset:17408                    // 00000000ED00: D89A4400 00005E14
	ds_write_b64 v20, v[98:99] offset:21760                    // 00000000ED08: D89A5500 00006214
	ds_write_b64 v20, v[102:103] offset:26112                  // 00000000ED10: D89A6600 00006614
	ds_write_b64 v20, v[106:107] offset:2176                   // 00000000ED18: D89A0880 00006A14
	ds_write_b64 v20, v[110:111] offset:6528                   // 00000000ED20: D89A1980 00006E14
	ds_write_b64 v20, v[114:115] offset:10880                  // 00000000ED28: D89A2A80 00007214
	ds_write_b64 v20, v[118:119] offset:15232                  // 00000000ED30: D89A3B80 00007614
	ds_write_b64 v20, v[122:123] offset:19584                  // 00000000ED38: D89A4C80 00007A14
	ds_write_b64 v20, v[126:127] offset:23936                  // 00000000ED40: D89A5D80 00007E14
	ds_write_b64 v20, v[130:131] offset:28288                  // 00000000ED48: D89A6E80 00008214
	s_waitcnt lgkmcnt(0)                                       // 00000000ED50: BF8CC07F
	s_barrier                                                  // 00000000ED54: BF8A0000
	ds_read_b32 v78, v21                                       // 00000000ED58: D86C0000 4E000015
	ds_read_b32 v79, v21 offset:64                             // 00000000ED60: D86C0040 4F000015
	ds_read_b32 v82, v21 offset:2176                           // 00000000ED68: D86C0880 52000015
	ds_read_b32 v83, v21 offset:2240                           // 00000000ED70: D86C08C0 53000015
	ds_read_b32 v86, v21 offset:4352                           // 00000000ED78: D86C1100 56000015
	ds_read_b32 v87, v21 offset:4416                           // 00000000ED80: D86C1140 57000015
	ds_read_b32 v90, v21 offset:6528                           // 00000000ED88: D86C1980 5A000015
	ds_read_b32 v91, v21 offset:6592                           // 00000000ED90: D86C19C0 5B000015
	ds_read_b32 v94, v21 offset:8704                           // 00000000ED98: D86C2200 5E000015
	ds_read_b32 v95, v21 offset:8768                           // 00000000EDA0: D86C2240 5F000015
	ds_read_b32 v98, v21 offset:10880                          // 00000000EDA8: D86C2A80 62000015
	ds_read_b32 v99, v21 offset:10944                          // 00000000EDB0: D86C2AC0 63000015
	ds_read_b32 v102, v21 offset:13056                         // 00000000EDB8: D86C3300 66000015
	ds_read_b32 v103, v21 offset:13120                         // 00000000EDC0: D86C3340 67000015
	ds_read_b32 v106, v21 offset:15232                         // 00000000EDC8: D86C3B80 6A000015
	ds_read_b32 v107, v21 offset:15296                         // 00000000EDD0: D86C3BC0 6B000015
	ds_read_b32 v110, v21 offset:17408                         // 00000000EDD8: D86C4400 6E000015
	ds_read_b32 v111, v21 offset:17472                         // 00000000EDE0: D86C4440 6F000015
	ds_read_b32 v114, v21 offset:19584                         // 00000000EDE8: D86C4C80 72000015
	ds_read_b32 v115, v21 offset:19648                         // 00000000EDF0: D86C4CC0 73000015
	ds_read_b32 v118, v21 offset:21760                         // 00000000EDF8: D86C5500 76000015
	ds_read_b32 v119, v21 offset:21824                         // 00000000EE00: D86C5540 77000015
	ds_read_b32 v122, v21 offset:23936                         // 00000000EE08: D86C5D80 7A000015
	ds_read_b32 v123, v21 offset:24000                         // 00000000EE10: D86C5DC0 7B000015
	ds_read_b32 v126, v21 offset:26112                         // 00000000EE18: D86C6600 7E000015
	ds_read_b32 v127, v21 offset:26176                         // 00000000EE20: D86C6640 7F000015
	ds_read_b32 v130, v21 offset:28288                         // 00000000EE28: D86C6E80 82000015
	ds_read_b32 v131, v21 offset:28352                         // 00000000EE30: D86C6EC0 83000015
	s_waitcnt lgkmcnt(0)                                       // 00000000EE38: BF8CC07F
	v_mov_b32_e32 v7, 0                                        // 00000000EE3C: 7E0E0280
	s_mov_b64 exec, s[36:37]                                   // 00000000EE40: BEFE0124
	v_mov_b32_e32 v6, v58                                      // 00000000EE44: 7E0C033A
	s_mov_b64 s[60:61], 0                                      // 00000000EE48: BEBC0180
	v_readlane_b32 s82, v3, 0                                  // 00000000EE4C: D2890052 00010103
	s_and_b32 s82, s82, 0xffffff                               // 00000000EE54: 8652FF52 00FFFFFF
	s_cmp_lt_u32 s82, s66                                      // 00000000EE5C: BF0A4252
	s_cselect_b32 s20, s36, s60                                // 00000000EE60: 85143C24
	v_readlane_b32 s82, v3, 1                                  // 00000000EE64: D2890052 00010303
	s_and_b32 s82, s82, 0xffffff                               // 00000000EE6C: 8652FF52 00FFFFFF
	s_cmp_lt_u32 s82, s66                                      // 00000000EE74: BF0A4252
	s_cselect_b32 s21, s36, s60                                // 00000000EE78: 85153C24
	s_mov_b64 exec, s[20:21]                                   // 00000000EE7C: BEFE0114
	global_atomic_add_f32 v6, v78, s[8:9] offset:8             // 00000000EE80: DD348008 00084E06
	global_atomic_add_f32 v6, v82, s[8:9] offset:264           // 00000000EE88: DD348108 00085206
	s_mov_b64 exec, s[36:37]                                   // 00000000EE90: BEFE0124
	v_mov_b32_e32 v6, v59                                      // 00000000EE94: 7E0C033B
	s_mov_b64 s[60:61], 0                                      // 00000000EE98: BEBC0180
	v_readlane_b32 s82, v3, 2                                  // 00000000EE9C: D2890052 00010503
	s_and_b32 s82, s82, 0xffffff                               // 00000000EEA4: 8652FF52 00FFFFFF
	s_cmp_lt_u32 s82, s66                                      // 00000000EEAC: BF0A4252
	s_cselect_b32 s20, s36, s60                                // 00000000EEB0: 85143C24
	v_readlane_b32 s82, v3, 3                                  // 00000000EEB4: D2890052 00010703
	s_and_b32 s82, s82, 0xffffff                               // 00000000EEBC: 8652FF52 00FFFFFF
	s_cmp_lt_u32 s82, s66                                      // 00000000EEC4: BF0A4252
	s_cselect_b32 s21, s36, s60                                // 00000000EEC8: 85153C24
	s_mov_b64 exec, s[20:21]                                   // 00000000EECC: BEFE0114
	global_atomic_add_f32 v6, v79, s[8:9] offset:8             // 00000000EED0: DD348008 00084F06
	global_atomic_add_f32 v6, v83, s[8:9] offset:264           // 00000000EED8: DD348108 00085306
	s_mov_b64 exec, s[36:37]                                   // 00000000EEE0: BEFE0124
	v_mov_b32_e32 v6, v60                                      // 00000000EEE4: 7E0C033C
	s_mov_b64 s[60:61], 0                                      // 00000000EEE8: BEBC0180
	v_readlane_b32 s82, v3, 4                                  // 00000000EEEC: D2890052 00010903
	s_and_b32 s82, s82, 0xffffff                               // 00000000EEF4: 8652FF52 00FFFFFF
	s_cmp_lt_u32 s82, s66                                      // 00000000EEFC: BF0A4252
	s_cselect_b32 s20, s36, s60                                // 00000000EF00: 85143C24
	v_readlane_b32 s82, v3, 5                                  // 00000000EF04: D2890052 00010B03
	s_and_b32 s82, s82, 0xffffff                               // 00000000EF0C: 8652FF52 00FFFFFF
	s_cmp_lt_u32 s82, s66                                      // 00000000EF14: BF0A4252
	s_cselect_b32 s21, s36, s60                                // 00000000EF18: 85153C24
	s_mov_b64 exec, s[20:21]                                   // 00000000EF1C: BEFE0114
	global_atomic_add_f32 v6, v86, s[8:9] offset:8             // 00000000EF20: DD348008 00085606
	global_atomic_add_f32 v6, v90, s[8:9] offset:264           // 00000000EF28: DD348108 00085A06
	s_mov_b64 exec, s[36:37]                                   // 00000000EF30: BEFE0124
	v_mov_b32_e32 v6, v61                                      // 00000000EF34: 7E0C033D
	s_mov_b64 s[60:61], 0                                      // 00000000EF38: BEBC0180
	v_readlane_b32 s82, v3, 6                                  // 00000000EF3C: D2890052 00010D03
	s_and_b32 s82, s82, 0xffffff                               // 00000000EF44: 8652FF52 00FFFFFF
	s_cmp_lt_u32 s82, s66                                      // 00000000EF4C: BF0A4252
	s_cselect_b32 s20, s36, s60                                // 00000000EF50: 85143C24
	v_readlane_b32 s82, v3, 7                                  // 00000000EF54: D2890052 00010F03
	s_and_b32 s82, s82, 0xffffff                               // 00000000EF5C: 8652FF52 00FFFFFF
	s_cmp_lt_u32 s82, s66                                      // 00000000EF64: BF0A4252
	s_cselect_b32 s21, s36, s60                                // 00000000EF68: 85153C24
	s_mov_b64 exec, s[20:21]                                   // 00000000EF6C: BEFE0114
	global_atomic_add_f32 v6, v87, s[8:9] offset:8             // 00000000EF70: DD348008 00085706
	global_atomic_add_f32 v6, v91, s[8:9] offset:264           // 00000000EF78: DD348108 00085B06
	s_mov_b64 exec, s[36:37]                                   // 00000000EF80: BEFE0124
	v_mov_b32_e32 v6, v62                                      // 00000000EF84: 7E0C033E
	s_mov_b64 s[60:61], 0                                      // 00000000EF88: BEBC0180
	v_readlane_b32 s82, v3, 8                                  // 00000000EF8C: D2890052 00011103
	s_and_b32 s82, s82, 0xffffff                               // 00000000EF94: 8652FF52 00FFFFFF
	s_cmp_lt_u32 s82, s66                                      // 00000000EF9C: BF0A4252
	s_cselect_b32 s20, s36, s60                                // 00000000EFA0: 85143C24
	v_readlane_b32 s82, v3, 9                                  // 00000000EFA4: D2890052 00011303
	s_and_b32 s82, s82, 0xffffff                               // 00000000EFAC: 8652FF52 00FFFFFF
	s_cmp_lt_u32 s82, s66                                      // 00000000EFB4: BF0A4252
	s_cselect_b32 s21, s36, s60                                // 00000000EFB8: 85153C24
	s_mov_b64 exec, s[20:21]                                   // 00000000EFBC: BEFE0114
	global_atomic_add_f32 v6, v94, s[8:9] offset:8             // 00000000EFC0: DD348008 00085E06
	global_atomic_add_f32 v6, v98, s[8:9] offset:264           // 00000000EFC8: DD348108 00086206
	s_mov_b64 exec, s[36:37]                                   // 00000000EFD0: BEFE0124
	v_mov_b32_e32 v6, v63                                      // 00000000EFD4: 7E0C033F
	s_mov_b64 s[60:61], 0                                      // 00000000EFD8: BEBC0180
	v_readlane_b32 s82, v3, 10                                 // 00000000EFDC: D2890052 00011503
	s_and_b32 s82, s82, 0xffffff                               // 00000000EFE4: 8652FF52 00FFFFFF
	s_cmp_lt_u32 s82, s66                                      // 00000000EFEC: BF0A4252
	s_cselect_b32 s20, s36, s60                                // 00000000EFF0: 85143C24
	v_readlane_b32 s82, v3, 11                                 // 00000000EFF4: D2890052 00011703
	s_and_b32 s82, s82, 0xffffff                               // 00000000EFFC: 8652FF52 00FFFFFF
	s_cmp_lt_u32 s82, s66                                      // 00000000F004: BF0A4252
	s_cselect_b32 s21, s36, s60                                // 00000000F008: 85153C24
	s_mov_b64 exec, s[20:21]                                   // 00000000F00C: BEFE0114
	global_atomic_add_f32 v6, v95, s[8:9] offset:8             // 00000000F010: DD348008 00085F06
	global_atomic_add_f32 v6, v99, s[8:9] offset:264           // 00000000F018: DD348108 00086306
	s_mov_b64 exec, s[36:37]                                   // 00000000F020: BEFE0124
	v_mov_b32_e32 v6, v64                                      // 00000000F024: 7E0C0340
	s_mov_b64 s[60:61], 0                                      // 00000000F028: BEBC0180
	v_readlane_b32 s82, v3, 12                                 // 00000000F02C: D2890052 00011903
	s_and_b32 s82, s82, 0xffffff                               // 00000000F034: 8652FF52 00FFFFFF
	s_cmp_lt_u32 s82, s66                                      // 00000000F03C: BF0A4252
	s_cselect_b32 s20, s36, s60                                // 00000000F040: 85143C24
	v_readlane_b32 s82, v3, 13                                 // 00000000F044: D2890052 00011B03
	s_and_b32 s82, s82, 0xffffff                               // 00000000F04C: 8652FF52 00FFFFFF
	s_cmp_lt_u32 s82, s66                                      // 00000000F054: BF0A4252
	s_cselect_b32 s21, s36, s60                                // 00000000F058: 85153C24
	s_mov_b64 exec, s[20:21]                                   // 00000000F05C: BEFE0114
	global_atomic_add_f32 v6, v102, s[8:9] offset:8            // 00000000F060: DD348008 00086606
	global_atomic_add_f32 v6, v106, s[8:9] offset:264          // 00000000F068: DD348108 00086A06
	s_mov_b64 exec, s[36:37]                                   // 00000000F070: BEFE0124
	v_mov_b32_e32 v6, v65                                      // 00000000F074: 7E0C0341
	s_mov_b64 s[60:61], 0                                      // 00000000F078: BEBC0180
	v_readlane_b32 s82, v3, 14                                 // 00000000F07C: D2890052 00011D03
	s_and_b32 s82, s82, 0xffffff                               // 00000000F084: 8652FF52 00FFFFFF
	s_cmp_lt_u32 s82, s66                                      // 00000000F08C: BF0A4252
	s_cselect_b32 s20, s36, s60                                // 00000000F090: 85143C24
	v_readlane_b32 s82, v3, 15                                 // 00000000F094: D2890052 00011F03
	s_and_b32 s82, s82, 0xffffff                               // 00000000F09C: 8652FF52 00FFFFFF
	s_cmp_lt_u32 s82, s66                                      // 00000000F0A4: BF0A4252
	s_cselect_b32 s21, s36, s60                                // 00000000F0A8: 85153C24
	s_mov_b64 exec, s[20:21]                                   // 00000000F0AC: BEFE0114
	global_atomic_add_f32 v6, v103, s[8:9] offset:8            // 00000000F0B0: DD348008 00086706
	global_atomic_add_f32 v6, v107, s[8:9] offset:264          // 00000000F0B8: DD348108 00086B06
	s_mov_b64 exec, s[36:37]                                   // 00000000F0C0: BEFE0124
	v_mov_b32_e32 v6, v66                                      // 00000000F0C4: 7E0C0342
	s_mov_b64 s[60:61], 0                                      // 00000000F0C8: BEBC0180
	v_readlane_b32 s82, v3, 16                                 // 00000000F0CC: D2890052 00012103
	s_and_b32 s82, s82, 0xffffff                               // 00000000F0D4: 8652FF52 00FFFFFF
	s_cmp_lt_u32 s82, s66                                      // 00000000F0DC: BF0A4252
	s_cselect_b32 s20, s36, s60                                // 00000000F0E0: 85143C24
	v_readlane_b32 s82, v3, 17                                 // 00000000F0E4: D2890052 00012303
	s_and_b32 s82, s82, 0xffffff                               // 00000000F0EC: 8652FF52 00FFFFFF
	s_cmp_lt_u32 s82, s66                                      // 00000000F0F4: BF0A4252
	s_cselect_b32 s21, s36, s60                                // 00000000F0F8: 85153C24
	s_mov_b64 exec, s[20:21]                                   // 00000000F0FC: BEFE0114
	global_atomic_add_f32 v6, v110, s[8:9] offset:8            // 00000000F100: DD348008 00086E06
	global_atomic_add_f32 v6, v114, s[8:9] offset:264          // 00000000F108: DD348108 00087206
	s_mov_b64 exec, s[36:37]                                   // 00000000F110: BEFE0124
	v_mov_b32_e32 v6, v67                                      // 00000000F114: 7E0C0343
	s_mov_b64 s[60:61], 0                                      // 00000000F118: BEBC0180
	v_readlane_b32 s82, v3, 18                                 // 00000000F11C: D2890052 00012503
	s_and_b32 s82, s82, 0xffffff                               // 00000000F124: 8652FF52 00FFFFFF
	s_cmp_lt_u32 s82, s66                                      // 00000000F12C: BF0A4252
	s_cselect_b32 s20, s36, s60                                // 00000000F130: 85143C24
	v_readlane_b32 s82, v3, 19                                 // 00000000F134: D2890052 00012703
	s_and_b32 s82, s82, 0xffffff                               // 00000000F13C: 8652FF52 00FFFFFF
	s_cmp_lt_u32 s82, s66                                      // 00000000F144: BF0A4252
	s_cselect_b32 s21, s36, s60                                // 00000000F148: 85153C24
	s_mov_b64 exec, s[20:21]                                   // 00000000F14C: BEFE0114
	global_atomic_add_f32 v6, v111, s[8:9] offset:8            // 00000000F150: DD348008 00086F06
	global_atomic_add_f32 v6, v115, s[8:9] offset:264          // 00000000F158: DD348108 00087306
	s_mov_b64 exec, s[36:37]                                   // 00000000F160: BEFE0124
	v_mov_b32_e32 v6, v68                                      // 00000000F164: 7E0C0344
	s_mov_b64 s[60:61], 0                                      // 00000000F168: BEBC0180
	v_readlane_b32 s82, v3, 20                                 // 00000000F16C: D2890052 00012903
	s_and_b32 s82, s82, 0xffffff                               // 00000000F174: 8652FF52 00FFFFFF
	s_cmp_lt_u32 s82, s66                                      // 00000000F17C: BF0A4252
	s_cselect_b32 s20, s36, s60                                // 00000000F180: 85143C24
	v_readlane_b32 s82, v3, 21                                 // 00000000F184: D2890052 00012B03
	s_and_b32 s82, s82, 0xffffff                               // 00000000F18C: 8652FF52 00FFFFFF
	s_cmp_lt_u32 s82, s66                                      // 00000000F194: BF0A4252
	s_cselect_b32 s21, s36, s60                                // 00000000F198: 85153C24
	s_mov_b64 exec, s[20:21]                                   // 00000000F19C: BEFE0114
	global_atomic_add_f32 v6, v118, s[8:9] offset:8            // 00000000F1A0: DD348008 00087606
	global_atomic_add_f32 v6, v122, s[8:9] offset:264          // 00000000F1A8: DD348108 00087A06
	s_mov_b64 exec, s[36:37]                                   // 00000000F1B0: BEFE0124
	v_mov_b32_e32 v6, v69                                      // 00000000F1B4: 7E0C0345
	s_mov_b64 s[60:61], 0                                      // 00000000F1B8: BEBC0180
	v_readlane_b32 s82, v3, 22                                 // 00000000F1BC: D2890052 00012D03
	s_and_b32 s82, s82, 0xffffff                               // 00000000F1C4: 8652FF52 00FFFFFF
	s_cmp_lt_u32 s82, s66                                      // 00000000F1CC: BF0A4252
	s_cselect_b32 s20, s36, s60                                // 00000000F1D0: 85143C24
	v_readlane_b32 s82, v3, 23                                 // 00000000F1D4: D2890052 00012F03
	s_and_b32 s82, s82, 0xffffff                               // 00000000F1DC: 8652FF52 00FFFFFF
	s_cmp_lt_u32 s82, s66                                      // 00000000F1E4: BF0A4252
	s_cselect_b32 s21, s36, s60                                // 00000000F1E8: 85153C24
	s_mov_b64 exec, s[20:21]                                   // 00000000F1EC: BEFE0114
	global_atomic_add_f32 v6, v119, s[8:9] offset:8            // 00000000F1F0: DD348008 00087706
	global_atomic_add_f32 v6, v123, s[8:9] offset:264          // 00000000F1F8: DD348108 00087B06
	s_mov_b64 exec, s[36:37]                                   // 00000000F200: BEFE0124
	v_mov_b32_e32 v6, v70                                      // 00000000F204: 7E0C0346
	s_mov_b64 s[60:61], 0                                      // 00000000F208: BEBC0180
	v_readlane_b32 s82, v3, 24                                 // 00000000F20C: D2890052 00013103
	s_and_b32 s82, s82, 0xffffff                               // 00000000F214: 8652FF52 00FFFFFF
	s_cmp_lt_u32 s82, s66                                      // 00000000F21C: BF0A4252
	s_cselect_b32 s20, s36, s60                                // 00000000F220: 85143C24
	v_readlane_b32 s82, v3, 25                                 // 00000000F224: D2890052 00013303
	s_and_b32 s82, s82, 0xffffff                               // 00000000F22C: 8652FF52 00FFFFFF
	s_cmp_lt_u32 s82, s66                                      // 00000000F234: BF0A4252
	s_cselect_b32 s21, s36, s60                                // 00000000F238: 85153C24
	s_mov_b64 exec, s[20:21]                                   // 00000000F23C: BEFE0114
	global_atomic_add_f32 v6, v126, s[8:9] offset:8            // 00000000F240: DD348008 00087E06
	global_atomic_add_f32 v6, v130, s[8:9] offset:264          // 00000000F248: DD348108 00088206
	s_mov_b64 exec, s[36:37]                                   // 00000000F250: BEFE0124
	v_mov_b32_e32 v6, v71                                      // 00000000F254: 7E0C0347
	s_mov_b64 s[60:61], 0                                      // 00000000F258: BEBC0180
	v_readlane_b32 s82, v3, 26                                 // 00000000F25C: D2890052 00013503
	s_and_b32 s82, s82, 0xffffff                               // 00000000F264: 8652FF52 00FFFFFF
	s_cmp_lt_u32 s82, s66                                      // 00000000F26C: BF0A4252
	s_cselect_b32 s20, s36, s60                                // 00000000F270: 85143C24
	v_readlane_b32 s82, v3, 27                                 // 00000000F274: D2890052 00013703
	s_and_b32 s82, s82, 0xffffff                               // 00000000F27C: 8652FF52 00FFFFFF
	s_cmp_lt_u32 s82, s66                                      // 00000000F284: BF0A4252
	s_cselect_b32 s21, s36, s60                                // 00000000F288: 85153C24
	s_mov_b64 exec, s[20:21]                                   // 00000000F28C: BEFE0114
	global_atomic_add_f32 v6, v127, s[8:9] offset:8            // 00000000F290: DD348008 00087F06
	global_atomic_add_f32 v6, v131, s[8:9] offset:264          // 00000000F298: DD348108 00088306
	s_mov_b64 exec, s[36:37]                                   // 00000000F2A0: BEFE0124
	ds_write_b64 v20, v[132:133]                               // 00000000F2A4: D89A0000 00008414
	ds_write_b64 v20, v[136:137] offset:4352                   // 00000000F2AC: D89A1100 00008814
	ds_write_b64 v20, v[140:141] offset:8704                   // 00000000F2B4: D89A2200 00008C14
	ds_write_b64 v20, v[144:145] offset:13056                  // 00000000F2BC: D89A3300 00009014
	ds_write_b64 v20, v[148:149] offset:17408                  // 00000000F2C4: D89A4400 00009414
	ds_write_b64 v20, v[152:153] offset:21760                  // 00000000F2CC: D89A5500 00009814
	ds_write_b64 v20, v[156:157] offset:26112                  // 00000000F2D4: D89A6600 00009C14
	ds_write_b64 v20, v[160:161] offset:2176                   // 00000000F2DC: D89A0880 0000A014
	ds_write_b64 v20, v[164:165] offset:6528                   // 00000000F2E4: D89A1980 0000A414
	ds_write_b64 v20, v[168:169] offset:10880                  // 00000000F2EC: D89A2A80 0000A814
	ds_write_b64 v20, v[172:173] offset:15232                  // 00000000F2F4: D89A3B80 0000AC14
	ds_write_b64 v20, v[176:177] offset:19584                  // 00000000F2FC: D89A4C80 0000B014
	ds_write_b64 v20, v[180:181] offset:23936                  // 00000000F304: D89A5D80 0000B414
	ds_write_b64 v20, v[184:185] offset:28288                  // 00000000F30C: D89A6E80 0000B814
	s_waitcnt lgkmcnt(0)                                       // 00000000F314: BF8CC07F
	s_barrier                                                  // 00000000F318: BF8A0000
	ds_read_b32 v132, v21                                      // 00000000F31C: D86C0000 84000015
	ds_read_b32 v133, v21 offset:64                            // 00000000F324: D86C0040 85000015
	ds_read_b32 v136, v21 offset:2176                          // 00000000F32C: D86C0880 88000015
	ds_read_b32 v137, v21 offset:2240                          // 00000000F334: D86C08C0 89000015
	ds_read_b32 v140, v21 offset:4352                          // 00000000F33C: D86C1100 8C000015
	ds_read_b32 v141, v21 offset:4416                          // 00000000F344: D86C1140 8D000015
	ds_read_b32 v144, v21 offset:6528                          // 00000000F34C: D86C1980 90000015
	ds_read_b32 v145, v21 offset:6592                          // 00000000F354: D86C19C0 91000015
	ds_read_b32 v148, v21 offset:8704                          // 00000000F35C: D86C2200 94000015
	ds_read_b32 v149, v21 offset:8768                          // 00000000F364: D86C2240 95000015
	ds_read_b32 v152, v21 offset:10880                         // 00000000F36C: D86C2A80 98000015
	ds_read_b32 v153, v21 offset:10944                         // 00000000F374: D86C2AC0 99000015
	ds_read_b32 v156, v21 offset:13056                         // 00000000F37C: D86C3300 9C000015
	ds_read_b32 v157, v21 offset:13120                         // 00000000F384: D86C3340 9D000015
	ds_read_b32 v160, v21 offset:15232                         // 00000000F38C: D86C3B80 A0000015
	ds_read_b32 v161, v21 offset:15296                         // 00000000F394: D86C3BC0 A1000015
	ds_read_b32 v164, v21 offset:17408                         // 00000000F39C: D86C4400 A4000015
	ds_read_b32 v165, v21 offset:17472                         // 00000000F3A4: D86C4440 A5000015
	ds_read_b32 v168, v21 offset:19584                         // 00000000F3AC: D86C4C80 A8000015
	ds_read_b32 v169, v21 offset:19648                         // 00000000F3B4: D86C4CC0 A9000015
	ds_read_b32 v172, v21 offset:21760                         // 00000000F3BC: D86C5500 AC000015
	ds_read_b32 v173, v21 offset:21824                         // 00000000F3C4: D86C5540 AD000015
	ds_read_b32 v176, v21 offset:23936                         // 00000000F3CC: D86C5D80 B0000015
	ds_read_b32 v177, v21 offset:24000                         // 00000000F3D4: D86C5DC0 B1000015
	ds_read_b32 v180, v21 offset:26112                         // 00000000F3DC: D86C6600 B4000015
	ds_read_b32 v181, v21 offset:26176                         // 00000000F3E4: D86C6640 B5000015
	ds_read_b32 v184, v21 offset:28288                         // 00000000F3EC: D86C6E80 B8000015
	ds_read_b32 v185, v21 offset:28352                         // 00000000F3F4: D86C6EC0 B9000015
	s_mul_i32 s60, s65, 4                                      // 00000000F3FC: 923C8441
	s_add_u32 s8, s60, s8                                      // 00000000F400: 8008083C
	s_addc_u32 s9, 0, s9                                       // 00000000F404: 82090980
	s_waitcnt lgkmcnt(0)                                       // 00000000F408: BF8CC07F
	v_mov_b32_e32 v7, 0                                        // 00000000F40C: 7E0E0280
	s_mov_b64 exec, s[36:37]                                   // 00000000F410: BEFE0124
	v_mov_b32_e32 v6, v58                                      // 00000000F414: 7E0C033A
	s_mov_b64 s[60:61], 0                                      // 00000000F418: BEBC0180
	v_readlane_b32 s82, v3, 0                                  // 00000000F41C: D2890052 00010103
	s_and_b32 s82, s82, 0xffffff                               // 00000000F424: 8652FF52 00FFFFFF
	s_cmp_lt_u32 s82, s66                                      // 00000000F42C: BF0A4252
	s_cselect_b32 s20, s36, s60                                // 00000000F430: 85143C24
	v_readlane_b32 s82, v3, 1                                  // 00000000F434: D2890052 00010303
	s_and_b32 s82, s82, 0xffffff                               // 00000000F43C: 8652FF52 00FFFFFF
	s_cmp_lt_u32 s82, s66                                      // 00000000F444: BF0A4252
	s_cselect_b32 s21, s36, s60                                // 00000000F448: 85153C24
	s_mov_b64 exec, s[20:21]                                   // 00000000F44C: BEFE0114
	global_atomic_add_f32 v6, v132, s[8:9]                     // 00000000F450: DD348000 00088406
	global_atomic_add_f32 v6, v136, s[8:9] offset:256          // 00000000F458: DD348100 00088806
	s_mov_b64 exec, s[36:37]                                   // 00000000F460: BEFE0124
	v_mov_b32_e32 v6, v59                                      // 00000000F464: 7E0C033B
	s_mov_b64 s[60:61], 0                                      // 00000000F468: BEBC0180
	v_readlane_b32 s82, v3, 2                                  // 00000000F46C: D2890052 00010503
	s_and_b32 s82, s82, 0xffffff                               // 00000000F474: 8652FF52 00FFFFFF
	s_cmp_lt_u32 s82, s66                                      // 00000000F47C: BF0A4252
	s_cselect_b32 s20, s36, s60                                // 00000000F480: 85143C24
	v_readlane_b32 s82, v3, 3                                  // 00000000F484: D2890052 00010703
	s_and_b32 s82, s82, 0xffffff                               // 00000000F48C: 8652FF52 00FFFFFF
	s_cmp_lt_u32 s82, s66                                      // 00000000F494: BF0A4252
	s_cselect_b32 s21, s36, s60                                // 00000000F498: 85153C24
	s_mov_b64 exec, s[20:21]                                   // 00000000F49C: BEFE0114
	global_atomic_add_f32 v6, v133, s[8:9]                     // 00000000F4A0: DD348000 00088506
	global_atomic_add_f32 v6, v137, s[8:9] offset:256          // 00000000F4A8: DD348100 00088906
	s_mov_b64 exec, s[36:37]                                   // 00000000F4B0: BEFE0124
	v_mov_b32_e32 v6, v60                                      // 00000000F4B4: 7E0C033C
	s_mov_b64 s[60:61], 0                                      // 00000000F4B8: BEBC0180
	v_readlane_b32 s82, v3, 4                                  // 00000000F4BC: D2890052 00010903
	s_and_b32 s82, s82, 0xffffff                               // 00000000F4C4: 8652FF52 00FFFFFF
	s_cmp_lt_u32 s82, s66                                      // 00000000F4CC: BF0A4252
	s_cselect_b32 s20, s36, s60                                // 00000000F4D0: 85143C24
	v_readlane_b32 s82, v3, 5                                  // 00000000F4D4: D2890052 00010B03
	s_and_b32 s82, s82, 0xffffff                               // 00000000F4DC: 8652FF52 00FFFFFF
	s_cmp_lt_u32 s82, s66                                      // 00000000F4E4: BF0A4252
	s_cselect_b32 s21, s36, s60                                // 00000000F4E8: 85153C24
	s_mov_b64 exec, s[20:21]                                   // 00000000F4EC: BEFE0114
	global_atomic_add_f32 v6, v140, s[8:9]                     // 00000000F4F0: DD348000 00088C06
	global_atomic_add_f32 v6, v144, s[8:9] offset:256          // 00000000F4F8: DD348100 00089006
	s_mov_b64 exec, s[36:37]                                   // 00000000F500: BEFE0124
	v_mov_b32_e32 v6, v61                                      // 00000000F504: 7E0C033D
	s_mov_b64 s[60:61], 0                                      // 00000000F508: BEBC0180
	v_readlane_b32 s82, v3, 6                                  // 00000000F50C: D2890052 00010D03
	s_and_b32 s82, s82, 0xffffff                               // 00000000F514: 8652FF52 00FFFFFF
	s_cmp_lt_u32 s82, s66                                      // 00000000F51C: BF0A4252
	s_cselect_b32 s20, s36, s60                                // 00000000F520: 85143C24
	v_readlane_b32 s82, v3, 7                                  // 00000000F524: D2890052 00010F03
	s_and_b32 s82, s82, 0xffffff                               // 00000000F52C: 8652FF52 00FFFFFF
	s_cmp_lt_u32 s82, s66                                      // 00000000F534: BF0A4252
	s_cselect_b32 s21, s36, s60                                // 00000000F538: 85153C24
	s_mov_b64 exec, s[20:21]                                   // 00000000F53C: BEFE0114
	global_atomic_add_f32 v6, v141, s[8:9]                     // 00000000F540: DD348000 00088D06
	global_atomic_add_f32 v6, v145, s[8:9] offset:256          // 00000000F548: DD348100 00089106
	s_mov_b64 exec, s[36:37]                                   // 00000000F550: BEFE0124
	v_mov_b32_e32 v6, v62                                      // 00000000F554: 7E0C033E
	s_mov_b64 s[60:61], 0                                      // 00000000F558: BEBC0180
	v_readlane_b32 s82, v3, 8                                  // 00000000F55C: D2890052 00011103
	s_and_b32 s82, s82, 0xffffff                               // 00000000F564: 8652FF52 00FFFFFF
	s_cmp_lt_u32 s82, s66                                      // 00000000F56C: BF0A4252
	s_cselect_b32 s20, s36, s60                                // 00000000F570: 85143C24
	v_readlane_b32 s82, v3, 9                                  // 00000000F574: D2890052 00011303
	s_and_b32 s82, s82, 0xffffff                               // 00000000F57C: 8652FF52 00FFFFFF
	s_cmp_lt_u32 s82, s66                                      // 00000000F584: BF0A4252
	s_cselect_b32 s21, s36, s60                                // 00000000F588: 85153C24
	s_mov_b64 exec, s[20:21]                                   // 00000000F58C: BEFE0114
	global_atomic_add_f32 v6, v148, s[8:9]                     // 00000000F590: DD348000 00089406
	global_atomic_add_f32 v6, v152, s[8:9] offset:256          // 00000000F598: DD348100 00089806
	s_mov_b64 exec, s[36:37]                                   // 00000000F5A0: BEFE0124
	v_mov_b32_e32 v6, v63                                      // 00000000F5A4: 7E0C033F
	s_mov_b64 s[60:61], 0                                      // 00000000F5A8: BEBC0180
	v_readlane_b32 s82, v3, 10                                 // 00000000F5AC: D2890052 00011503
	s_and_b32 s82, s82, 0xffffff                               // 00000000F5B4: 8652FF52 00FFFFFF
	s_cmp_lt_u32 s82, s66                                      // 00000000F5BC: BF0A4252
	s_cselect_b32 s20, s36, s60                                // 00000000F5C0: 85143C24
	v_readlane_b32 s82, v3, 11                                 // 00000000F5C4: D2890052 00011703
	s_and_b32 s82, s82, 0xffffff                               // 00000000F5CC: 8652FF52 00FFFFFF
	s_cmp_lt_u32 s82, s66                                      // 00000000F5D4: BF0A4252
	s_cselect_b32 s21, s36, s60                                // 00000000F5D8: 85153C24
	s_mov_b64 exec, s[20:21]                                   // 00000000F5DC: BEFE0114
	global_atomic_add_f32 v6, v149, s[8:9]                     // 00000000F5E0: DD348000 00089506
	global_atomic_add_f32 v6, v153, s[8:9] offset:256          // 00000000F5E8: DD348100 00089906
	s_mov_b64 exec, s[36:37]                                   // 00000000F5F0: BEFE0124
	v_mov_b32_e32 v6, v64                                      // 00000000F5F4: 7E0C0340
	s_mov_b64 s[60:61], 0                                      // 00000000F5F8: BEBC0180
	v_readlane_b32 s82, v3, 12                                 // 00000000F5FC: D2890052 00011903
	s_and_b32 s82, s82, 0xffffff                               // 00000000F604: 8652FF52 00FFFFFF
	s_cmp_lt_u32 s82, s66                                      // 00000000F60C: BF0A4252
	s_cselect_b32 s20, s36, s60                                // 00000000F610: 85143C24
	v_readlane_b32 s82, v3, 13                                 // 00000000F614: D2890052 00011B03
	s_and_b32 s82, s82, 0xffffff                               // 00000000F61C: 8652FF52 00FFFFFF
	s_cmp_lt_u32 s82, s66                                      // 00000000F624: BF0A4252
	s_cselect_b32 s21, s36, s60                                // 00000000F628: 85153C24
	s_mov_b64 exec, s[20:21]                                   // 00000000F62C: BEFE0114
	global_atomic_add_f32 v6, v156, s[8:9]                     // 00000000F630: DD348000 00089C06
	global_atomic_add_f32 v6, v160, s[8:9] offset:256          // 00000000F638: DD348100 0008A006
	s_mov_b64 exec, s[36:37]                                   // 00000000F640: BEFE0124
	v_mov_b32_e32 v6, v65                                      // 00000000F644: 7E0C0341
	s_mov_b64 s[60:61], 0                                      // 00000000F648: BEBC0180
	v_readlane_b32 s82, v3, 14                                 // 00000000F64C: D2890052 00011D03
	s_and_b32 s82, s82, 0xffffff                               // 00000000F654: 8652FF52 00FFFFFF
	s_cmp_lt_u32 s82, s66                                      // 00000000F65C: BF0A4252
	s_cselect_b32 s20, s36, s60                                // 00000000F660: 85143C24
	v_readlane_b32 s82, v3, 15                                 // 00000000F664: D2890052 00011F03
	s_and_b32 s82, s82, 0xffffff                               // 00000000F66C: 8652FF52 00FFFFFF
	s_cmp_lt_u32 s82, s66                                      // 00000000F674: BF0A4252
	s_cselect_b32 s21, s36, s60                                // 00000000F678: 85153C24
	s_mov_b64 exec, s[20:21]                                   // 00000000F67C: BEFE0114
	global_atomic_add_f32 v6, v157, s[8:9]                     // 00000000F680: DD348000 00089D06
	global_atomic_add_f32 v6, v161, s[8:9] offset:256          // 00000000F688: DD348100 0008A106
	s_mov_b64 exec, s[36:37]                                   // 00000000F690: BEFE0124
	v_mov_b32_e32 v6, v66                                      // 00000000F694: 7E0C0342
	s_mov_b64 s[60:61], 0                                      // 00000000F698: BEBC0180
	v_readlane_b32 s82, v3, 16                                 // 00000000F69C: D2890052 00012103
	s_and_b32 s82, s82, 0xffffff                               // 00000000F6A4: 8652FF52 00FFFFFF
	s_cmp_lt_u32 s82, s66                                      // 00000000F6AC: BF0A4252
	s_cselect_b32 s20, s36, s60                                // 00000000F6B0: 85143C24
	v_readlane_b32 s82, v3, 17                                 // 00000000F6B4: D2890052 00012303
	s_and_b32 s82, s82, 0xffffff                               // 00000000F6BC: 8652FF52 00FFFFFF
	s_cmp_lt_u32 s82, s66                                      // 00000000F6C4: BF0A4252
	s_cselect_b32 s21, s36, s60                                // 00000000F6C8: 85153C24
	s_mov_b64 exec, s[20:21]                                   // 00000000F6CC: BEFE0114
	global_atomic_add_f32 v6, v164, s[8:9]                     // 00000000F6D0: DD348000 0008A406
	global_atomic_add_f32 v6, v168, s[8:9] offset:256          // 00000000F6D8: DD348100 0008A806
	s_mov_b64 exec, s[36:37]                                   // 00000000F6E0: BEFE0124
	v_mov_b32_e32 v6, v67                                      // 00000000F6E4: 7E0C0343
	s_mov_b64 s[60:61], 0                                      // 00000000F6E8: BEBC0180
	v_readlane_b32 s82, v3, 18                                 // 00000000F6EC: D2890052 00012503
	s_and_b32 s82, s82, 0xffffff                               // 00000000F6F4: 8652FF52 00FFFFFF
	s_cmp_lt_u32 s82, s66                                      // 00000000F6FC: BF0A4252
	s_cselect_b32 s20, s36, s60                                // 00000000F700: 85143C24
	v_readlane_b32 s82, v3, 19                                 // 00000000F704: D2890052 00012703
	s_and_b32 s82, s82, 0xffffff                               // 00000000F70C: 8652FF52 00FFFFFF
	s_cmp_lt_u32 s82, s66                                      // 00000000F714: BF0A4252
	s_cselect_b32 s21, s36, s60                                // 00000000F718: 85153C24
	s_mov_b64 exec, s[20:21]                                   // 00000000F71C: BEFE0114
	global_atomic_add_f32 v6, v165, s[8:9]                     // 00000000F720: DD348000 0008A506
	global_atomic_add_f32 v6, v169, s[8:9] offset:256          // 00000000F728: DD348100 0008A906
	s_mov_b64 exec, s[36:37]                                   // 00000000F730: BEFE0124
	v_mov_b32_e32 v6, v68                                      // 00000000F734: 7E0C0344
	s_mov_b64 s[60:61], 0                                      // 00000000F738: BEBC0180
	v_readlane_b32 s82, v3, 20                                 // 00000000F73C: D2890052 00012903
	s_and_b32 s82, s82, 0xffffff                               // 00000000F744: 8652FF52 00FFFFFF
	s_cmp_lt_u32 s82, s66                                      // 00000000F74C: BF0A4252
	s_cselect_b32 s20, s36, s60                                // 00000000F750: 85143C24
	v_readlane_b32 s82, v3, 21                                 // 00000000F754: D2890052 00012B03
	s_and_b32 s82, s82, 0xffffff                               // 00000000F75C: 8652FF52 00FFFFFF
	s_cmp_lt_u32 s82, s66                                      // 00000000F764: BF0A4252
	s_cselect_b32 s21, s36, s60                                // 00000000F768: 85153C24
	s_mov_b64 exec, s[20:21]                                   // 00000000F76C: BEFE0114
	global_atomic_add_f32 v6, v172, s[8:9]                     // 00000000F770: DD348000 0008AC06
	global_atomic_add_f32 v6, v176, s[8:9] offset:256          // 00000000F778: DD348100 0008B006
	s_mov_b64 exec, s[36:37]                                   // 00000000F780: BEFE0124
	v_mov_b32_e32 v6, v69                                      // 00000000F784: 7E0C0345
	s_mov_b64 s[60:61], 0                                      // 00000000F788: BEBC0180
	v_readlane_b32 s82, v3, 22                                 // 00000000F78C: D2890052 00012D03
	s_and_b32 s82, s82, 0xffffff                               // 00000000F794: 8652FF52 00FFFFFF
	s_cmp_lt_u32 s82, s66                                      // 00000000F79C: BF0A4252
	s_cselect_b32 s20, s36, s60                                // 00000000F7A0: 85143C24
	v_readlane_b32 s82, v3, 23                                 // 00000000F7A4: D2890052 00012F03
	s_and_b32 s82, s82, 0xffffff                               // 00000000F7AC: 8652FF52 00FFFFFF
	s_cmp_lt_u32 s82, s66                                      // 00000000F7B4: BF0A4252
	s_cselect_b32 s21, s36, s60                                // 00000000F7B8: 85153C24
	s_mov_b64 exec, s[20:21]                                   // 00000000F7BC: BEFE0114
	global_atomic_add_f32 v6, v173, s[8:9]                     // 00000000F7C0: DD348000 0008AD06
	global_atomic_add_f32 v6, v177, s[8:9] offset:256          // 00000000F7C8: DD348100 0008B106
	s_mov_b64 exec, s[36:37]                                   // 00000000F7D0: BEFE0124
	v_mov_b32_e32 v6, v70                                      // 00000000F7D4: 7E0C0346
	s_mov_b64 s[60:61], 0                                      // 00000000F7D8: BEBC0180
	v_readlane_b32 s82, v3, 24                                 // 00000000F7DC: D2890052 00013103
	s_and_b32 s82, s82, 0xffffff                               // 00000000F7E4: 8652FF52 00FFFFFF
	s_cmp_lt_u32 s82, s66                                      // 00000000F7EC: BF0A4252
	s_cselect_b32 s20, s36, s60                                // 00000000F7F0: 85143C24
	v_readlane_b32 s82, v3, 25                                 // 00000000F7F4: D2890052 00013303
	s_and_b32 s82, s82, 0xffffff                               // 00000000F7FC: 8652FF52 00FFFFFF
	s_cmp_lt_u32 s82, s66                                      // 00000000F804: BF0A4252
	s_cselect_b32 s21, s36, s60                                // 00000000F808: 85153C24
	s_mov_b64 exec, s[20:21]                                   // 00000000F80C: BEFE0114
	global_atomic_add_f32 v6, v180, s[8:9]                     // 00000000F810: DD348000 0008B406
	global_atomic_add_f32 v6, v184, s[8:9] offset:256          // 00000000F818: DD348100 0008B806
	s_mov_b64 exec, s[36:37]                                   // 00000000F820: BEFE0124
	v_mov_b32_e32 v6, v71                                      // 00000000F824: 7E0C0347
	s_mov_b64 s[60:61], 0                                      // 00000000F828: BEBC0180
	v_readlane_b32 s82, v3, 26                                 // 00000000F82C: D2890052 00013503
	s_and_b32 s82, s82, 0xffffff                               // 00000000F834: 8652FF52 00FFFFFF
	s_cmp_lt_u32 s82, s66                                      // 00000000F83C: BF0A4252
	s_cselect_b32 s20, s36, s60                                // 00000000F840: 85143C24
	v_readlane_b32 s82, v3, 27                                 // 00000000F844: D2890052 00013703
	s_and_b32 s82, s82, 0xffffff                               // 00000000F84C: 8652FF52 00FFFFFF
	s_cmp_lt_u32 s82, s66                                      // 00000000F854: BF0A4252
	s_cselect_b32 s21, s36, s60                                // 00000000F858: 85153C24
	s_mov_b64 exec, s[20:21]                                   // 00000000F85C: BEFE0114
	global_atomic_add_f32 v6, v181, s[8:9]                     // 00000000F860: DD348000 0008B506
	global_atomic_add_f32 v6, v185, s[8:9] offset:256          // 00000000F868: DD348100 0008B906
	s_mov_b64 exec, s[36:37]                                   // 00000000F870: BEFE0124
	ds_write_b64 v20, v[134:135]                               // 00000000F874: D89A0000 00008614
	ds_write_b64 v20, v[138:139] offset:4352                   // 00000000F87C: D89A1100 00008A14
	ds_write_b64 v20, v[142:143] offset:8704                   // 00000000F884: D89A2200 00008E14
	ds_write_b64 v20, v[146:147] offset:13056                  // 00000000F88C: D89A3300 00009214
	ds_write_b64 v20, v[150:151] offset:17408                  // 00000000F894: D89A4400 00009614
	ds_write_b64 v20, v[154:155] offset:21760                  // 00000000F89C: D89A5500 00009A14
	ds_write_b64 v20, v[158:159] offset:26112                  // 00000000F8A4: D89A6600 00009E14
	ds_write_b64 v20, v[162:163] offset:2176                   // 00000000F8AC: D89A0880 0000A214
	ds_write_b64 v20, v[166:167] offset:6528                   // 00000000F8B4: D89A1980 0000A614
	ds_write_b64 v20, v[170:171] offset:10880                  // 00000000F8BC: D89A2A80 0000AA14
	ds_write_b64 v20, v[174:175] offset:15232                  // 00000000F8C4: D89A3B80 0000AE14
	ds_write_b64 v20, v[178:179] offset:19584                  // 00000000F8CC: D89A4C80 0000B214
	ds_write_b64 v20, v[182:183] offset:23936                  // 00000000F8D4: D89A5D80 0000B614
	ds_write_b64 v20, v[186:187] offset:28288                  // 00000000F8DC: D89A6E80 0000BA14
	s_waitcnt lgkmcnt(0)                                       // 00000000F8E4: BF8CC07F
	s_barrier                                                  // 00000000F8E8: BF8A0000
	ds_read_b32 v134, v21                                      // 00000000F8EC: D86C0000 86000015
	ds_read_b32 v135, v21 offset:64                            // 00000000F8F4: D86C0040 87000015
	ds_read_b32 v138, v21 offset:2176                          // 00000000F8FC: D86C0880 8A000015
	ds_read_b32 v139, v21 offset:2240                          // 00000000F904: D86C08C0 8B000015
	ds_read_b32 v142, v21 offset:4352                          // 00000000F90C: D86C1100 8E000015
	ds_read_b32 v143, v21 offset:4416                          // 00000000F914: D86C1140 8F000015
	ds_read_b32 v146, v21 offset:6528                          // 00000000F91C: D86C1980 92000015
	ds_read_b32 v147, v21 offset:6592                          // 00000000F924: D86C19C0 93000015
	ds_read_b32 v150, v21 offset:8704                          // 00000000F92C: D86C2200 96000015
	ds_read_b32 v151, v21 offset:8768                          // 00000000F934: D86C2240 97000015
	ds_read_b32 v154, v21 offset:10880                         // 00000000F93C: D86C2A80 9A000015
	ds_read_b32 v155, v21 offset:10944                         // 00000000F944: D86C2AC0 9B000015
	ds_read_b32 v158, v21 offset:13056                         // 00000000F94C: D86C3300 9E000015
	ds_read_b32 v159, v21 offset:13120                         // 00000000F954: D86C3340 9F000015
	ds_read_b32 v162, v21 offset:15232                         // 00000000F95C: D86C3B80 A2000015
	ds_read_b32 v163, v21 offset:15296                         // 00000000F964: D86C3BC0 A3000015
	ds_read_b32 v166, v21 offset:17408                         // 00000000F96C: D86C4400 A6000015
	ds_read_b32 v167, v21 offset:17472                         // 00000000F974: D86C4440 A7000015
	ds_read_b32 v170, v21 offset:19584                         // 00000000F97C: D86C4C80 AA000015
	ds_read_b32 v171, v21 offset:19648                         // 00000000F984: D86C4CC0 AB000015
	ds_read_b32 v174, v21 offset:21760                         // 00000000F98C: D86C5500 AE000015
	ds_read_b32 v175, v21 offset:21824                         // 00000000F994: D86C5540 AF000015
	ds_read_b32 v178, v21 offset:23936                         // 00000000F99C: D86C5D80 B2000015
	ds_read_b32 v179, v21 offset:24000                         // 00000000F9A4: D86C5DC0 B3000015
	ds_read_b32 v182, v21 offset:26112                         // 00000000F9AC: D86C6600 B6000015
	ds_read_b32 v183, v21 offset:26176                         // 00000000F9B4: D86C6640 B7000015
	ds_read_b32 v186, v21 offset:28288                         // 00000000F9BC: D86C6E80 BA000015
	ds_read_b32 v187, v21 offset:28352                         // 00000000F9C4: D86C6EC0 BB000015
	s_waitcnt lgkmcnt(0)                                       // 00000000F9CC: BF8CC07F
	v_mov_b32_e32 v7, 0                                        // 00000000F9D0: 7E0E0280
	s_mov_b64 exec, s[36:37]                                   // 00000000F9D4: BEFE0124
	v_mov_b32_e32 v6, v58                                      // 00000000F9D8: 7E0C033A
	s_mov_b64 s[60:61], 0                                      // 00000000F9DC: BEBC0180
	v_readlane_b32 s82, v3, 0                                  // 00000000F9E0: D2890052 00010103
	s_and_b32 s82, s82, 0xffffff                               // 00000000F9E8: 8652FF52 00FFFFFF
	s_cmp_lt_u32 s82, s66                                      // 00000000F9F0: BF0A4252
	s_cselect_b32 s20, s36, s60                                // 00000000F9F4: 85143C24
	v_readlane_b32 s82, v3, 1                                  // 00000000F9F8: D2890052 00010303
	s_and_b32 s82, s82, 0xffffff                               // 00000000FA00: 8652FF52 00FFFFFF
	s_cmp_lt_u32 s82, s66                                      // 00000000FA08: BF0A4252
	s_cselect_b32 s21, s36, s60                                // 00000000FA0C: 85153C24
	s_mov_b64 exec, s[20:21]                                   // 00000000FA10: BEFE0114
	global_atomic_add_f32 v6, v134, s[8:9] offset:8            // 00000000FA14: DD348008 00088606
	global_atomic_add_f32 v6, v138, s[8:9] offset:264          // 00000000FA1C: DD348108 00088A06
	s_mov_b64 exec, s[36:37]                                   // 00000000FA24: BEFE0124
	v_mov_b32_e32 v6, v59                                      // 00000000FA28: 7E0C033B
	s_mov_b64 s[60:61], 0                                      // 00000000FA2C: BEBC0180
	v_readlane_b32 s82, v3, 2                                  // 00000000FA30: D2890052 00010503
	s_and_b32 s82, s82, 0xffffff                               // 00000000FA38: 8652FF52 00FFFFFF
	s_cmp_lt_u32 s82, s66                                      // 00000000FA40: BF0A4252
	s_cselect_b32 s20, s36, s60                                // 00000000FA44: 85143C24
	v_readlane_b32 s82, v3, 3                                  // 00000000FA48: D2890052 00010703
	s_and_b32 s82, s82, 0xffffff                               // 00000000FA50: 8652FF52 00FFFFFF
	s_cmp_lt_u32 s82, s66                                      // 00000000FA58: BF0A4252
	s_cselect_b32 s21, s36, s60                                // 00000000FA5C: 85153C24
	s_mov_b64 exec, s[20:21]                                   // 00000000FA60: BEFE0114
	global_atomic_add_f32 v6, v135, s[8:9] offset:8            // 00000000FA64: DD348008 00088706
	global_atomic_add_f32 v6, v139, s[8:9] offset:264          // 00000000FA6C: DD348108 00088B06
	s_mov_b64 exec, s[36:37]                                   // 00000000FA74: BEFE0124
	v_mov_b32_e32 v6, v60                                      // 00000000FA78: 7E0C033C
	s_mov_b64 s[60:61], 0                                      // 00000000FA7C: BEBC0180
	v_readlane_b32 s82, v3, 4                                  // 00000000FA80: D2890052 00010903
	s_and_b32 s82, s82, 0xffffff                               // 00000000FA88: 8652FF52 00FFFFFF
	s_cmp_lt_u32 s82, s66                                      // 00000000FA90: BF0A4252
	s_cselect_b32 s20, s36, s60                                // 00000000FA94: 85143C24
	v_readlane_b32 s82, v3, 5                                  // 00000000FA98: D2890052 00010B03
	s_and_b32 s82, s82, 0xffffff                               // 00000000FAA0: 8652FF52 00FFFFFF
	s_cmp_lt_u32 s82, s66                                      // 00000000FAA8: BF0A4252
	s_cselect_b32 s21, s36, s60                                // 00000000FAAC: 85153C24
	s_mov_b64 exec, s[20:21]                                   // 00000000FAB0: BEFE0114
	global_atomic_add_f32 v6, v142, s[8:9] offset:8            // 00000000FAB4: DD348008 00088E06
	global_atomic_add_f32 v6, v146, s[8:9] offset:264          // 00000000FABC: DD348108 00089206
	s_mov_b64 exec, s[36:37]                                   // 00000000FAC4: BEFE0124
	v_mov_b32_e32 v6, v61                                      // 00000000FAC8: 7E0C033D
	s_mov_b64 s[60:61], 0                                      // 00000000FACC: BEBC0180
	v_readlane_b32 s82, v3, 6                                  // 00000000FAD0: D2890052 00010D03
	s_and_b32 s82, s82, 0xffffff                               // 00000000FAD8: 8652FF52 00FFFFFF
	s_cmp_lt_u32 s82, s66                                      // 00000000FAE0: BF0A4252
	s_cselect_b32 s20, s36, s60                                // 00000000FAE4: 85143C24
	v_readlane_b32 s82, v3, 7                                  // 00000000FAE8: D2890052 00010F03
	s_and_b32 s82, s82, 0xffffff                               // 00000000FAF0: 8652FF52 00FFFFFF
	s_cmp_lt_u32 s82, s66                                      // 00000000FAF8: BF0A4252
	s_cselect_b32 s21, s36, s60                                // 00000000FAFC: 85153C24
	s_mov_b64 exec, s[20:21]                                   // 00000000FB00: BEFE0114
	global_atomic_add_f32 v6, v143, s[8:9] offset:8            // 00000000FB04: DD348008 00088F06
	global_atomic_add_f32 v6, v147, s[8:9] offset:264          // 00000000FB0C: DD348108 00089306
	s_mov_b64 exec, s[36:37]                                   // 00000000FB14: BEFE0124
	v_mov_b32_e32 v6, v62                                      // 00000000FB18: 7E0C033E
	s_mov_b64 s[60:61], 0                                      // 00000000FB1C: BEBC0180
	v_readlane_b32 s82, v3, 8                                  // 00000000FB20: D2890052 00011103
	s_and_b32 s82, s82, 0xffffff                               // 00000000FB28: 8652FF52 00FFFFFF
	s_cmp_lt_u32 s82, s66                                      // 00000000FB30: BF0A4252
	s_cselect_b32 s20, s36, s60                                // 00000000FB34: 85143C24
	v_readlane_b32 s82, v3, 9                                  // 00000000FB38: D2890052 00011303
	s_and_b32 s82, s82, 0xffffff                               // 00000000FB40: 8652FF52 00FFFFFF
	s_cmp_lt_u32 s82, s66                                      // 00000000FB48: BF0A4252
	s_cselect_b32 s21, s36, s60                                // 00000000FB4C: 85153C24
	s_mov_b64 exec, s[20:21]                                   // 00000000FB50: BEFE0114
	global_atomic_add_f32 v6, v150, s[8:9] offset:8            // 00000000FB54: DD348008 00089606
	global_atomic_add_f32 v6, v154, s[8:9] offset:264          // 00000000FB5C: DD348108 00089A06
	s_mov_b64 exec, s[36:37]                                   // 00000000FB64: BEFE0124
	v_mov_b32_e32 v6, v63                                      // 00000000FB68: 7E0C033F
	s_mov_b64 s[60:61], 0                                      // 00000000FB6C: BEBC0180
	v_readlane_b32 s82, v3, 10                                 // 00000000FB70: D2890052 00011503
	s_and_b32 s82, s82, 0xffffff                               // 00000000FB78: 8652FF52 00FFFFFF
	s_cmp_lt_u32 s82, s66                                      // 00000000FB80: BF0A4252
	s_cselect_b32 s20, s36, s60                                // 00000000FB84: 85143C24
	v_readlane_b32 s82, v3, 11                                 // 00000000FB88: D2890052 00011703
	s_and_b32 s82, s82, 0xffffff                               // 00000000FB90: 8652FF52 00FFFFFF
	s_cmp_lt_u32 s82, s66                                      // 00000000FB98: BF0A4252
	s_cselect_b32 s21, s36, s60                                // 00000000FB9C: 85153C24
	s_mov_b64 exec, s[20:21]                                   // 00000000FBA0: BEFE0114
	global_atomic_add_f32 v6, v151, s[8:9] offset:8            // 00000000FBA4: DD348008 00089706
	global_atomic_add_f32 v6, v155, s[8:9] offset:264          // 00000000FBAC: DD348108 00089B06
	s_mov_b64 exec, s[36:37]                                   // 00000000FBB4: BEFE0124
	v_mov_b32_e32 v6, v64                                      // 00000000FBB8: 7E0C0340
	s_mov_b64 s[60:61], 0                                      // 00000000FBBC: BEBC0180
	v_readlane_b32 s82, v3, 12                                 // 00000000FBC0: D2890052 00011903
	s_and_b32 s82, s82, 0xffffff                               // 00000000FBC8: 8652FF52 00FFFFFF
	s_cmp_lt_u32 s82, s66                                      // 00000000FBD0: BF0A4252
	s_cselect_b32 s20, s36, s60                                // 00000000FBD4: 85143C24
	v_readlane_b32 s82, v3, 13                                 // 00000000FBD8: D2890052 00011B03
	s_and_b32 s82, s82, 0xffffff                               // 00000000FBE0: 8652FF52 00FFFFFF
	s_cmp_lt_u32 s82, s66                                      // 00000000FBE8: BF0A4252
	s_cselect_b32 s21, s36, s60                                // 00000000FBEC: 85153C24
	s_mov_b64 exec, s[20:21]                                   // 00000000FBF0: BEFE0114
	global_atomic_add_f32 v6, v158, s[8:9] offset:8            // 00000000FBF4: DD348008 00089E06
	global_atomic_add_f32 v6, v162, s[8:9] offset:264          // 00000000FBFC: DD348108 0008A206
	s_mov_b64 exec, s[36:37]                                   // 00000000FC04: BEFE0124
	v_mov_b32_e32 v6, v65                                      // 00000000FC08: 7E0C0341
	s_mov_b64 s[60:61], 0                                      // 00000000FC0C: BEBC0180
	v_readlane_b32 s82, v3, 14                                 // 00000000FC10: D2890052 00011D03
	s_and_b32 s82, s82, 0xffffff                               // 00000000FC18: 8652FF52 00FFFFFF
	s_cmp_lt_u32 s82, s66                                      // 00000000FC20: BF0A4252
	s_cselect_b32 s20, s36, s60                                // 00000000FC24: 85143C24
	v_readlane_b32 s82, v3, 15                                 // 00000000FC28: D2890052 00011F03
	s_and_b32 s82, s82, 0xffffff                               // 00000000FC30: 8652FF52 00FFFFFF
	s_cmp_lt_u32 s82, s66                                      // 00000000FC38: BF0A4252
	s_cselect_b32 s21, s36, s60                                // 00000000FC3C: 85153C24
	s_mov_b64 exec, s[20:21]                                   // 00000000FC40: BEFE0114
	global_atomic_add_f32 v6, v159, s[8:9] offset:8            // 00000000FC44: DD348008 00089F06
	global_atomic_add_f32 v6, v163, s[8:9] offset:264          // 00000000FC4C: DD348108 0008A306
	s_mov_b64 exec, s[36:37]                                   // 00000000FC54: BEFE0124
	v_mov_b32_e32 v6, v66                                      // 00000000FC58: 7E0C0342
	s_mov_b64 s[60:61], 0                                      // 00000000FC5C: BEBC0180
	v_readlane_b32 s82, v3, 16                                 // 00000000FC60: D2890052 00012103
	s_and_b32 s82, s82, 0xffffff                               // 00000000FC68: 8652FF52 00FFFFFF
	s_cmp_lt_u32 s82, s66                                      // 00000000FC70: BF0A4252
	s_cselect_b32 s20, s36, s60                                // 00000000FC74: 85143C24
	v_readlane_b32 s82, v3, 17                                 // 00000000FC78: D2890052 00012303
	s_and_b32 s82, s82, 0xffffff                               // 00000000FC80: 8652FF52 00FFFFFF
	s_cmp_lt_u32 s82, s66                                      // 00000000FC88: BF0A4252
	s_cselect_b32 s21, s36, s60                                // 00000000FC8C: 85153C24
	s_mov_b64 exec, s[20:21]                                   // 00000000FC90: BEFE0114
	global_atomic_add_f32 v6, v166, s[8:9] offset:8            // 00000000FC94: DD348008 0008A606
	global_atomic_add_f32 v6, v170, s[8:9] offset:264          // 00000000FC9C: DD348108 0008AA06
	s_mov_b64 exec, s[36:37]                                   // 00000000FCA4: BEFE0124
	v_mov_b32_e32 v6, v67                                      // 00000000FCA8: 7E0C0343
	s_mov_b64 s[60:61], 0                                      // 00000000FCAC: BEBC0180
	v_readlane_b32 s82, v3, 18                                 // 00000000FCB0: D2890052 00012503
	s_and_b32 s82, s82, 0xffffff                               // 00000000FCB8: 8652FF52 00FFFFFF
	s_cmp_lt_u32 s82, s66                                      // 00000000FCC0: BF0A4252
	s_cselect_b32 s20, s36, s60                                // 00000000FCC4: 85143C24
	v_readlane_b32 s82, v3, 19                                 // 00000000FCC8: D2890052 00012703
	s_and_b32 s82, s82, 0xffffff                               // 00000000FCD0: 8652FF52 00FFFFFF
	s_cmp_lt_u32 s82, s66                                      // 00000000FCD8: BF0A4252
	s_cselect_b32 s21, s36, s60                                // 00000000FCDC: 85153C24
	s_mov_b64 exec, s[20:21]                                   // 00000000FCE0: BEFE0114
	global_atomic_add_f32 v6, v167, s[8:9] offset:8            // 00000000FCE4: DD348008 0008A706
	global_atomic_add_f32 v6, v171, s[8:9] offset:264          // 00000000FCEC: DD348108 0008AB06
	s_mov_b64 exec, s[36:37]                                   // 00000000FCF4: BEFE0124
	v_mov_b32_e32 v6, v68                                      // 00000000FCF8: 7E0C0344
	s_mov_b64 s[60:61], 0                                      // 00000000FCFC: BEBC0180
	v_readlane_b32 s82, v3, 20                                 // 00000000FD00: D2890052 00012903
	s_and_b32 s82, s82, 0xffffff                               // 00000000FD08: 8652FF52 00FFFFFF
	s_cmp_lt_u32 s82, s66                                      // 00000000FD10: BF0A4252
	s_cselect_b32 s20, s36, s60                                // 00000000FD14: 85143C24
	v_readlane_b32 s82, v3, 21                                 // 00000000FD18: D2890052 00012B03
	s_and_b32 s82, s82, 0xffffff                               // 00000000FD20: 8652FF52 00FFFFFF
	s_cmp_lt_u32 s82, s66                                      // 00000000FD28: BF0A4252
	s_cselect_b32 s21, s36, s60                                // 00000000FD2C: 85153C24
	s_mov_b64 exec, s[20:21]                                   // 00000000FD30: BEFE0114
	global_atomic_add_f32 v6, v174, s[8:9] offset:8            // 00000000FD34: DD348008 0008AE06
	global_atomic_add_f32 v6, v178, s[8:9] offset:264          // 00000000FD3C: DD348108 0008B206
	s_mov_b64 exec, s[36:37]                                   // 00000000FD44: BEFE0124
	v_mov_b32_e32 v6, v69                                      // 00000000FD48: 7E0C0345
	s_mov_b64 s[60:61], 0                                      // 00000000FD4C: BEBC0180
	v_readlane_b32 s82, v3, 22                                 // 00000000FD50: D2890052 00012D03
	s_and_b32 s82, s82, 0xffffff                               // 00000000FD58: 8652FF52 00FFFFFF
	s_cmp_lt_u32 s82, s66                                      // 00000000FD60: BF0A4252
	s_cselect_b32 s20, s36, s60                                // 00000000FD64: 85143C24
	v_readlane_b32 s82, v3, 23                                 // 00000000FD68: D2890052 00012F03
	s_and_b32 s82, s82, 0xffffff                               // 00000000FD70: 8652FF52 00FFFFFF
	s_cmp_lt_u32 s82, s66                                      // 00000000FD78: BF0A4252
	s_cselect_b32 s21, s36, s60                                // 00000000FD7C: 85153C24
	s_mov_b64 exec, s[20:21]                                   // 00000000FD80: BEFE0114
	global_atomic_add_f32 v6, v175, s[8:9] offset:8            // 00000000FD84: DD348008 0008AF06
	global_atomic_add_f32 v6, v179, s[8:9] offset:264          // 00000000FD8C: DD348108 0008B306
	s_mov_b64 exec, s[36:37]                                   // 00000000FD94: BEFE0124
	v_mov_b32_e32 v6, v70                                      // 00000000FD98: 7E0C0346
	s_mov_b64 s[60:61], 0                                      // 00000000FD9C: BEBC0180
	v_readlane_b32 s82, v3, 24                                 // 00000000FDA0: D2890052 00013103
	s_and_b32 s82, s82, 0xffffff                               // 00000000FDA8: 8652FF52 00FFFFFF
	s_cmp_lt_u32 s82, s66                                      // 00000000FDB0: BF0A4252
	s_cselect_b32 s20, s36, s60                                // 00000000FDB4: 85143C24
	v_readlane_b32 s82, v3, 25                                 // 00000000FDB8: D2890052 00013303
	s_and_b32 s82, s82, 0xffffff                               // 00000000FDC0: 8652FF52 00FFFFFF
	s_cmp_lt_u32 s82, s66                                      // 00000000FDC8: BF0A4252
	s_cselect_b32 s21, s36, s60                                // 00000000FDCC: 85153C24
	s_mov_b64 exec, s[20:21]                                   // 00000000FDD0: BEFE0114
	global_atomic_add_f32 v6, v182, s[8:9] offset:8            // 00000000FDD4: DD348008 0008B606
	global_atomic_add_f32 v6, v186, s[8:9] offset:264          // 00000000FDDC: DD348108 0008BA06
	s_mov_b64 exec, s[36:37]                                   // 00000000FDE4: BEFE0124
	v_mov_b32_e32 v6, v71                                      // 00000000FDE8: 7E0C0347
	s_mov_b64 s[60:61], 0                                      // 00000000FDEC: BEBC0180
	v_readlane_b32 s82, v3, 26                                 // 00000000FDF0: D2890052 00013503
	s_and_b32 s82, s82, 0xffffff                               // 00000000FDF8: 8652FF52 00FFFFFF
	s_cmp_lt_u32 s82, s66                                      // 00000000FE00: BF0A4252
	s_cselect_b32 s20, s36, s60                                // 00000000FE04: 85143C24
	v_readlane_b32 s82, v3, 27                                 // 00000000FE08: D2890052 00013703
	s_and_b32 s82, s82, 0xffffff                               // 00000000FE10: 8652FF52 00FFFFFF
	s_cmp_lt_u32 s82, s66                                      // 00000000FE18: BF0A4252
	s_cselect_b32 s21, s36, s60                                // 00000000FE1C: 85153C24
	s_mov_b64 exec, s[20:21]                                   // 00000000FE20: BEFE0114
	global_atomic_add_f32 v6, v183, s[8:9] offset:8            // 00000000FE24: DD348008 0008B706
	global_atomic_add_f32 v6, v187, s[8:9] offset:264          // 00000000FE2C: DD348108 0008BB06
	s_mov_b64 exec, s[36:37]                                   // 00000000FE34: BEFE0124
	s_branch label_3512                                        // 00000000FE38: BF820000

000000000000fe3c <label_3512>:
	s_waitcnt vmcnt(0) expcnt(0) lgkmcnt(0)                    // 00000000FE3C: BF8C0000
	s_endpgm                                                   // 00000000FE40: BF810000
